;; amdgpu-corpus repo=ROCm/rocFFT kind=compiled arch=gfx1100 opt=O3
	.text
	.amdgcn_target "amdgcn-amd-amdhsa--gfx1100"
	.amdhsa_code_object_version 6
	.protected	fft_rtc_back_len595_factors_7_17_5_wgs_51_tpt_17_halfLds_dp_op_CI_CI_unitstride_sbrr_dirReg ; -- Begin function fft_rtc_back_len595_factors_7_17_5_wgs_51_tpt_17_halfLds_dp_op_CI_CI_unitstride_sbrr_dirReg
	.globl	fft_rtc_back_len595_factors_7_17_5_wgs_51_tpt_17_halfLds_dp_op_CI_CI_unitstride_sbrr_dirReg
	.p2align	8
	.type	fft_rtc_back_len595_factors_7_17_5_wgs_51_tpt_17_halfLds_dp_op_CI_CI_unitstride_sbrr_dirReg,@function
fft_rtc_back_len595_factors_7_17_5_wgs_51_tpt_17_halfLds_dp_op_CI_CI_unitstride_sbrr_dirReg: ; @fft_rtc_back_len595_factors_7_17_5_wgs_51_tpt_17_halfLds_dp_op_CI_CI_unitstride_sbrr_dirReg
; %bb.0:
	s_load_b128 s[8:11], s[0:1], 0x0
	v_mul_u32_u24_e32 v1, 0xf10, v0
	s_clause 0x1
	s_load_b128 s[4:7], s[0:1], 0x58
	s_load_b128 s[16:19], s[0:1], 0x18
	v_mov_b32_e32 v6, 0
	v_lshrrev_b32_e32 v2, 16, v1
	v_mov_b32_e32 v1, 0
	s_delay_alu instid0(VALU_DEP_2) | instskip(NEXT) | instid1(VALU_DEP_2)
	v_mad_u64_u32 v[4:5], null, s15, 3, v[2:3]
	v_mov_b32_e32 v5, v1
	v_mov_b32_e32 v7, 0
	s_delay_alu instid0(VALU_DEP_2) | instskip(SKIP_2) | instid1(VALU_DEP_3)
	v_dual_mov_b32 v237, v5 :: v_dual_mov_b32 v236, v4
	s_waitcnt lgkmcnt(0)
	v_cmp_lt_u64_e64 s2, s[10:11], 2
	v_dual_mov_b32 v235, v7 :: v_dual_mov_b32 v234, v6
	s_delay_alu instid0(VALU_DEP_2)
	s_and_b32 vcc_lo, exec_lo, s2
	s_cbranch_vccnz .LBB0_8
; %bb.1:
	s_load_b64 s[2:3], s[0:1], 0x10
	v_dual_mov_b32 v6, 0 :: v_dual_mov_b32 v9, v5
	v_dual_mov_b32 v7, 0 :: v_dual_mov_b32 v8, v4
	s_add_u32 s12, s18, 8
	s_addc_u32 s13, s19, 0
	s_add_u32 s14, s16, 8
	s_delay_alu instid0(VALU_DEP_1)
	v_dual_mov_b32 v235, v7 :: v_dual_mov_b32 v234, v6
	s_addc_u32 s15, s17, 0
	s_mov_b64 s[22:23], 1
	s_waitcnt lgkmcnt(0)
	s_add_u32 s20, s2, 8
	s_addc_u32 s21, s3, 0
.LBB0_2:                                ; =>This Inner Loop Header: Depth=1
	s_load_b64 s[24:25], s[20:21], 0x0
                                        ; implicit-def: $vgpr236_vgpr237
	s_mov_b32 s2, exec_lo
	s_waitcnt lgkmcnt(0)
	v_or_b32_e32 v2, s25, v9
	s_delay_alu instid0(VALU_DEP_1)
	v_cmpx_ne_u64_e32 0, v[1:2]
	s_xor_b32 s3, exec_lo, s2
	s_cbranch_execz .LBB0_4
; %bb.3:                                ;   in Loop: Header=BB0_2 Depth=1
	v_cvt_f32_u32_e32 v2, s24
	v_cvt_f32_u32_e32 v3, s25
	s_sub_u32 s2, 0, s24
	s_subb_u32 s26, 0, s25
	s_delay_alu instid0(VALU_DEP_1) | instskip(NEXT) | instid1(VALU_DEP_1)
	v_fmac_f32_e32 v2, 0x4f800000, v3
	v_rcp_f32_e32 v2, v2
	s_waitcnt_depctr 0xfff
	v_mul_f32_e32 v2, 0x5f7ffffc, v2
	s_delay_alu instid0(VALU_DEP_1) | instskip(NEXT) | instid1(VALU_DEP_1)
	v_mul_f32_e32 v3, 0x2f800000, v2
	v_trunc_f32_e32 v3, v3
	s_delay_alu instid0(VALU_DEP_1) | instskip(SKIP_1) | instid1(VALU_DEP_2)
	v_fmac_f32_e32 v2, 0xcf800000, v3
	v_cvt_u32_f32_e32 v3, v3
	v_cvt_u32_f32_e32 v2, v2
	s_delay_alu instid0(VALU_DEP_2) | instskip(NEXT) | instid1(VALU_DEP_2)
	v_mul_lo_u32 v5, s2, v3
	v_mul_hi_u32 v10, s2, v2
	v_mul_lo_u32 v11, s26, v2
	s_delay_alu instid0(VALU_DEP_2) | instskip(SKIP_1) | instid1(VALU_DEP_2)
	v_add_nc_u32_e32 v5, v10, v5
	v_mul_lo_u32 v10, s2, v2
	v_add_nc_u32_e32 v5, v5, v11
	s_delay_alu instid0(VALU_DEP_2) | instskip(NEXT) | instid1(VALU_DEP_2)
	v_mul_hi_u32 v11, v2, v10
	v_mul_lo_u32 v12, v2, v5
	v_mul_hi_u32 v13, v2, v5
	v_mul_hi_u32 v14, v3, v10
	v_mul_lo_u32 v10, v3, v10
	v_mul_hi_u32 v15, v3, v5
	v_mul_lo_u32 v5, v3, v5
	v_add_co_u32 v11, vcc_lo, v11, v12
	v_add_co_ci_u32_e32 v12, vcc_lo, 0, v13, vcc_lo
	s_delay_alu instid0(VALU_DEP_2) | instskip(NEXT) | instid1(VALU_DEP_2)
	v_add_co_u32 v10, vcc_lo, v11, v10
	v_add_co_ci_u32_e32 v10, vcc_lo, v12, v14, vcc_lo
	v_add_co_ci_u32_e32 v11, vcc_lo, 0, v15, vcc_lo
	s_delay_alu instid0(VALU_DEP_2) | instskip(NEXT) | instid1(VALU_DEP_2)
	v_add_co_u32 v5, vcc_lo, v10, v5
	v_add_co_ci_u32_e32 v10, vcc_lo, 0, v11, vcc_lo
	s_delay_alu instid0(VALU_DEP_2) | instskip(NEXT) | instid1(VALU_DEP_2)
	v_add_co_u32 v2, vcc_lo, v2, v5
	v_add_co_ci_u32_e32 v3, vcc_lo, v3, v10, vcc_lo
	s_delay_alu instid0(VALU_DEP_2) | instskip(SKIP_1) | instid1(VALU_DEP_3)
	v_mul_hi_u32 v5, s2, v2
	v_mul_lo_u32 v11, s26, v2
	v_mul_lo_u32 v10, s2, v3
	s_delay_alu instid0(VALU_DEP_1) | instskip(SKIP_1) | instid1(VALU_DEP_2)
	v_add_nc_u32_e32 v5, v5, v10
	v_mul_lo_u32 v10, s2, v2
	v_add_nc_u32_e32 v5, v5, v11
	s_delay_alu instid0(VALU_DEP_2) | instskip(NEXT) | instid1(VALU_DEP_2)
	v_mul_hi_u32 v11, v2, v10
	v_mul_lo_u32 v12, v2, v5
	v_mul_hi_u32 v13, v2, v5
	v_mul_hi_u32 v14, v3, v10
	v_mul_lo_u32 v10, v3, v10
	v_mul_hi_u32 v15, v3, v5
	v_mul_lo_u32 v5, v3, v5
	v_add_co_u32 v11, vcc_lo, v11, v12
	v_add_co_ci_u32_e32 v12, vcc_lo, 0, v13, vcc_lo
	s_delay_alu instid0(VALU_DEP_2) | instskip(NEXT) | instid1(VALU_DEP_2)
	v_add_co_u32 v10, vcc_lo, v11, v10
	v_add_co_ci_u32_e32 v10, vcc_lo, v12, v14, vcc_lo
	v_add_co_ci_u32_e32 v11, vcc_lo, 0, v15, vcc_lo
	s_delay_alu instid0(VALU_DEP_2) | instskip(NEXT) | instid1(VALU_DEP_2)
	v_add_co_u32 v5, vcc_lo, v10, v5
	v_add_co_ci_u32_e32 v10, vcc_lo, 0, v11, vcc_lo
	s_delay_alu instid0(VALU_DEP_2) | instskip(NEXT) | instid1(VALU_DEP_2)
	v_add_co_u32 v5, vcc_lo, v2, v5
	v_add_co_ci_u32_e32 v14, vcc_lo, v3, v10, vcc_lo
	s_delay_alu instid0(VALU_DEP_2) | instskip(SKIP_1) | instid1(VALU_DEP_3)
	v_mul_hi_u32 v15, v8, v5
	v_mad_u64_u32 v[10:11], null, v9, v5, 0
	v_mad_u64_u32 v[2:3], null, v8, v14, 0
	;; [unrolled: 1-line block ×3, first 2 shown]
	s_delay_alu instid0(VALU_DEP_2) | instskip(NEXT) | instid1(VALU_DEP_3)
	v_add_co_u32 v2, vcc_lo, v15, v2
	v_add_co_ci_u32_e32 v3, vcc_lo, 0, v3, vcc_lo
	s_delay_alu instid0(VALU_DEP_2) | instskip(NEXT) | instid1(VALU_DEP_2)
	v_add_co_u32 v2, vcc_lo, v2, v10
	v_add_co_ci_u32_e32 v2, vcc_lo, v3, v11, vcc_lo
	v_add_co_ci_u32_e32 v3, vcc_lo, 0, v13, vcc_lo
	s_delay_alu instid0(VALU_DEP_2) | instskip(NEXT) | instid1(VALU_DEP_2)
	v_add_co_u32 v5, vcc_lo, v2, v12
	v_add_co_ci_u32_e32 v10, vcc_lo, 0, v3, vcc_lo
	s_delay_alu instid0(VALU_DEP_2) | instskip(SKIP_1) | instid1(VALU_DEP_3)
	v_mul_lo_u32 v11, s25, v5
	v_mad_u64_u32 v[2:3], null, s24, v5, 0
	v_mul_lo_u32 v12, s24, v10
	s_delay_alu instid0(VALU_DEP_2) | instskip(NEXT) | instid1(VALU_DEP_2)
	v_sub_co_u32 v2, vcc_lo, v8, v2
	v_add3_u32 v3, v3, v12, v11
	s_delay_alu instid0(VALU_DEP_1) | instskip(NEXT) | instid1(VALU_DEP_1)
	v_sub_nc_u32_e32 v11, v9, v3
	v_subrev_co_ci_u32_e64 v11, s2, s25, v11, vcc_lo
	v_add_co_u32 v12, s2, v5, 2
	s_delay_alu instid0(VALU_DEP_1) | instskip(SKIP_3) | instid1(VALU_DEP_3)
	v_add_co_ci_u32_e64 v13, s2, 0, v10, s2
	v_sub_co_u32 v14, s2, v2, s24
	v_sub_co_ci_u32_e32 v3, vcc_lo, v9, v3, vcc_lo
	v_subrev_co_ci_u32_e64 v11, s2, 0, v11, s2
	v_cmp_le_u32_e32 vcc_lo, s24, v14
	s_delay_alu instid0(VALU_DEP_3) | instskip(SKIP_1) | instid1(VALU_DEP_4)
	v_cmp_eq_u32_e64 s2, s25, v3
	v_cndmask_b32_e64 v14, 0, -1, vcc_lo
	v_cmp_le_u32_e32 vcc_lo, s25, v11
	v_cndmask_b32_e64 v15, 0, -1, vcc_lo
	v_cmp_le_u32_e32 vcc_lo, s24, v2
	;; [unrolled: 2-line block ×3, first 2 shown]
	v_cndmask_b32_e64 v16, 0, -1, vcc_lo
	v_cmp_eq_u32_e32 vcc_lo, s25, v11
	s_delay_alu instid0(VALU_DEP_2) | instskip(SKIP_3) | instid1(VALU_DEP_3)
	v_cndmask_b32_e64 v2, v16, v2, s2
	v_cndmask_b32_e32 v11, v15, v14, vcc_lo
	v_add_co_u32 v14, vcc_lo, v5, 1
	v_add_co_ci_u32_e32 v15, vcc_lo, 0, v10, vcc_lo
	v_cmp_ne_u32_e32 vcc_lo, 0, v11
	s_delay_alu instid0(VALU_DEP_2) | instskip(NEXT) | instid1(VALU_DEP_4)
	v_cndmask_b32_e32 v3, v15, v13, vcc_lo
	v_cndmask_b32_e32 v11, v14, v12, vcc_lo
	v_cmp_ne_u32_e32 vcc_lo, 0, v2
	s_delay_alu instid0(VALU_DEP_3) | instskip(NEXT) | instid1(VALU_DEP_3)
	v_cndmask_b32_e32 v237, v10, v3, vcc_lo
	v_cndmask_b32_e32 v236, v5, v11, vcc_lo
.LBB0_4:                                ;   in Loop: Header=BB0_2 Depth=1
	s_and_not1_saveexec_b32 s2, s3
	s_cbranch_execz .LBB0_6
; %bb.5:                                ;   in Loop: Header=BB0_2 Depth=1
	v_cvt_f32_u32_e32 v2, s24
	s_sub_i32 s3, 0, s24
	v_mov_b32_e32 v237, v1
	s_delay_alu instid0(VALU_DEP_2) | instskip(SKIP_2) | instid1(VALU_DEP_1)
	v_rcp_iflag_f32_e32 v2, v2
	s_waitcnt_depctr 0xfff
	v_mul_f32_e32 v2, 0x4f7ffffe, v2
	v_cvt_u32_f32_e32 v2, v2
	s_delay_alu instid0(VALU_DEP_1) | instskip(NEXT) | instid1(VALU_DEP_1)
	v_mul_lo_u32 v3, s3, v2
	v_mul_hi_u32 v3, v2, v3
	s_delay_alu instid0(VALU_DEP_1) | instskip(NEXT) | instid1(VALU_DEP_1)
	v_add_nc_u32_e32 v2, v2, v3
	v_mul_hi_u32 v2, v8, v2
	s_delay_alu instid0(VALU_DEP_1) | instskip(SKIP_1) | instid1(VALU_DEP_2)
	v_mul_lo_u32 v3, v2, s24
	v_add_nc_u32_e32 v5, 1, v2
	v_sub_nc_u32_e32 v3, v8, v3
	s_delay_alu instid0(VALU_DEP_1) | instskip(SKIP_1) | instid1(VALU_DEP_2)
	v_subrev_nc_u32_e32 v10, s24, v3
	v_cmp_le_u32_e32 vcc_lo, s24, v3
	v_dual_cndmask_b32 v3, v3, v10 :: v_dual_cndmask_b32 v2, v2, v5
	s_delay_alu instid0(VALU_DEP_1) | instskip(NEXT) | instid1(VALU_DEP_2)
	v_cmp_le_u32_e32 vcc_lo, s24, v3
	v_add_nc_u32_e32 v5, 1, v2
	s_delay_alu instid0(VALU_DEP_1)
	v_cndmask_b32_e32 v236, v2, v5, vcc_lo
.LBB0_6:                                ;   in Loop: Header=BB0_2 Depth=1
	s_or_b32 exec_lo, exec_lo, s2
	v_mul_lo_u32 v5, v237, s24
	s_delay_alu instid0(VALU_DEP_2)
	v_mul_lo_u32 v10, v236, s25
	s_load_b64 s[2:3], s[14:15], 0x0
	v_mad_u64_u32 v[2:3], null, v236, s24, 0
	s_load_b64 s[24:25], s[12:13], 0x0
	s_add_u32 s22, s22, 1
	s_addc_u32 s23, s23, 0
	s_add_u32 s12, s12, 8
	s_addc_u32 s13, s13, 0
	s_add_u32 s14, s14, 8
	s_delay_alu instid0(VALU_DEP_1) | instskip(SKIP_3) | instid1(VALU_DEP_2)
	v_add3_u32 v3, v3, v10, v5
	v_sub_co_u32 v5, vcc_lo, v8, v2
	s_addc_u32 s15, s15, 0
	s_add_u32 s20, s20, 8
	v_sub_co_ci_u32_e32 v8, vcc_lo, v9, v3, vcc_lo
	s_addc_u32 s21, s21, 0
	s_waitcnt lgkmcnt(0)
	s_delay_alu instid0(VALU_DEP_1)
	v_mul_lo_u32 v10, s2, v8
	v_mul_lo_u32 v11, s3, v5
	v_mad_u64_u32 v[2:3], null, s2, v5, v[6:7]
	v_mul_lo_u32 v12, s24, v8
	v_mul_lo_u32 v13, s25, v5
	v_mad_u64_u32 v[8:9], null, s24, v5, v[234:235]
	v_cmp_ge_u64_e64 s2, s[22:23], s[10:11]
	v_add3_u32 v7, v11, v3, v10
	v_mov_b32_e32 v6, v2
	s_delay_alu instid0(VALU_DEP_4)
	v_add3_u32 v235, v13, v9, v12
	v_mov_b32_e32 v234, v8
	s_and_b32 vcc_lo, exec_lo, s2
	s_cbranch_vccnz .LBB0_8
; %bb.7:                                ;   in Loop: Header=BB0_2 Depth=1
	v_dual_mov_b32 v8, v236 :: v_dual_mov_b32 v9, v237
	s_branch .LBB0_2
.LBB0_8:
	s_load_b64 s[0:1], s[0:1], 0x28
	v_mul_hi_u32 v1, 0xf0f0f10, v0
	s_lshl_b64 s[10:11], s[10:11], 3
                                        ; implicit-def: $vgpr252
	s_delay_alu instid0(SALU_CYCLE_1) | instskip(SKIP_4) | instid1(VALU_DEP_1)
	s_add_u32 s2, s18, s10
	s_addc_u32 s3, s19, s11
	s_waitcnt lgkmcnt(0)
	v_cmp_gt_u64_e32 vcc_lo, s[0:1], v[236:237]
	v_cmp_le_u64_e64 s0, s[0:1], v[236:237]
	s_and_saveexec_b32 s1, s0
	s_delay_alu instid0(SALU_CYCLE_1)
	s_xor_b32 s0, exec_lo, s1
; %bb.9:
	v_mul_u32_u24_e32 v1, 17, v1
                                        ; implicit-def: $vgpr6_vgpr7
	s_delay_alu instid0(VALU_DEP_1)
	v_sub_nc_u32_e32 v252, v0, v1
                                        ; implicit-def: $vgpr1
                                        ; implicit-def: $vgpr0
; %bb.10:
	s_or_saveexec_b32 s1, s0
                                        ; implicit-def: $vgpr216_vgpr217
                                        ; implicit-def: $vgpr208_vgpr209
                                        ; implicit-def: $vgpr184_vgpr185
                                        ; implicit-def: $vgpr164_vgpr165
                                        ; implicit-def: $vgpr156_vgpr157
                                        ; implicit-def: $vgpr148_vgpr149
                                        ; implicit-def: $vgpr116_vgpr117
                                        ; implicit-def: $vgpr220_vgpr221
                                        ; implicit-def: $vgpr204_vgpr205
                                        ; implicit-def: $vgpr160_vgpr161
                                        ; implicit-def: $vgpr168_vgpr169
                                        ; implicit-def: $vgpr140_vgpr141
                                        ; implicit-def: $vgpr152_vgpr153
                                        ; implicit-def: $vgpr2_vgpr3
                                        ; implicit-def: $vgpr112_vgpr113
                                        ; implicit-def: $vgpr176_vgpr177
                                        ; implicit-def: $vgpr180_vgpr181
                                        ; implicit-def: $vgpr172_vgpr173
                                        ; implicit-def: $vgpr132_vgpr133
                                        ; implicit-def: $vgpr120_vgpr121
                                        ; implicit-def: $vgpr100_vgpr101
                                        ; implicit-def: $vgpr228_vgpr229
                                        ; implicit-def: $vgpr200_vgpr201
                                        ; implicit-def: $vgpr192_vgpr193
                                        ; implicit-def: $vgpr196_vgpr197
                                        ; implicit-def: $vgpr124_vgpr125
                                        ; implicit-def: $vgpr128_vgpr129
                                        ; implicit-def: $vgpr104_vgpr105
                                        ; implicit-def: $vgpr232_vgpr233
                                        ; implicit-def: $vgpr224_vgpr225
                                        ; implicit-def: $vgpr212_vgpr213
                                        ; implicit-def: $vgpr188_vgpr189
                                        ; implicit-def: $vgpr136_vgpr137
                                        ; implicit-def: $vgpr144_vgpr145
                                        ; implicit-def: $vgpr108_vgpr109
	s_delay_alu instid0(SALU_CYCLE_1)
	s_xor_b32 exec_lo, exec_lo, s1
	s_cbranch_execz .LBB0_12
; %bb.11:
	s_add_u32 s10, s16, s10
	s_addc_u32 s11, s17, s11
	s_load_b64 s[10:11], s[10:11], 0x0
	s_waitcnt lgkmcnt(0)
	v_mul_lo_u32 v5, s11, v236
	v_mul_lo_u32 v8, s10, v237
	v_mad_u64_u32 v[2:3], null, s10, v236, 0
	s_delay_alu instid0(VALU_DEP_1) | instskip(SKIP_2) | instid1(VALU_DEP_3)
	v_add3_u32 v3, v3, v8, v5
	v_mul_u32_u24_e32 v8, 17, v1
	v_lshlrev_b64 v[5:6], 4, v[6:7]
	v_lshlrev_b64 v[1:2], 4, v[2:3]
	s_delay_alu instid0(VALU_DEP_3) | instskip(NEXT) | instid1(VALU_DEP_2)
	v_sub_nc_u32_e32 v252, v0, v8
	v_add_co_u32 v0, s0, s4, v1
	s_delay_alu instid0(VALU_DEP_1) | instskip(NEXT) | instid1(VALU_DEP_3)
	v_add_co_ci_u32_e64 v1, s0, s5, v2, s0
	v_lshlrev_b32_e32 v2, 4, v252
	s_delay_alu instid0(VALU_DEP_3) | instskip(NEXT) | instid1(VALU_DEP_1)
	v_add_co_u32 v0, s0, v0, v5
	v_add_co_ci_u32_e64 v1, s0, v1, v6, s0
	s_delay_alu instid0(VALU_DEP_3) | instskip(NEXT) | instid1(VALU_DEP_3)
	v_or_b32_e32 v3, 0x2200, v2
	v_add_co_u32 v5, s0, v0, v2
	s_delay_alu instid0(VALU_DEP_1) | instskip(NEXT) | instid1(VALU_DEP_3)
	v_add_co_ci_u32_e64 v6, s0, 0, v1, s0
	v_add_co_u32 v0, s0, v0, v3
	s_delay_alu instid0(VALU_DEP_1) | instskip(NEXT) | instid1(VALU_DEP_4)
	v_add_co_ci_u32_e64 v1, s0, 0, v1, s0
	v_add_co_u32 v7, s0, 0x1000, v5
	s_delay_alu instid0(VALU_DEP_1)
	v_add_co_ci_u32_e64 v8, s0, 0, v6, s0
	v_add_co_u32 v9, s0, 0x2000, v5
	s_clause 0x3
	global_load_b128 v[106:109], v[5:6], off
	global_load_b128 v[102:105], v[5:6], off offset:272
	global_load_b128 v[134:137], v[5:6], off offset:2720
	;; [unrolled: 1-line block ×3, first 2 shown]
	v_add_co_ci_u32_e64 v10, s0, 0, v6, s0
	s_clause 0x1e
	global_load_b128 v[126:129], v[5:6], off offset:1632
	global_load_b128 v[118:121], v[5:6], off offset:1904
	global_load_b128 v[110:113], v[0:1], off
	global_load_b128 v[98:101], v[5:6], off offset:544
	global_load_b128 v[0:3], v[5:6], off offset:816
	;; [unrolled: 1-line block ×28, first 2 shown]
.LBB0_12:
	s_or_b32 exec_lo, exec_lo, s1
	s_waitcnt vmcnt(3)
	v_add_f64 v[5:6], v[230:231], v[142:143]
	v_add_f64 v[7:8], v[222:223], v[134:135]
	s_waitcnt vmcnt(2)
	v_add_f64 v[9:10], v[226:227], v[126:127]
	v_add_f64 v[11:12], v[198:199], v[122:123]
	;; [unrolled: 3-line block ×3, first 2 shown]
	v_add_f64 v[17:18], v[110:111], v[118:119]
	v_add_f64 v[19:20], v[174:175], v[130:131]
	;; [unrolled: 1-line block ×3, first 2 shown]
	s_waitcnt vmcnt(0)
	v_add_f64 v[29:30], v[214:215], v[146:147]
	v_add_f64 v[31:32], v[206:207], v[154:155]
	v_add_f64 v[21:22], v[136:137], -v[224:225]
	v_add_f64 v[23:24], v[212:213], -v[188:189]
	;; [unrolled: 1-line block ×6, first 2 shown]
	v_add_f64 v[37:38], v[190:191], v[194:195]
	v_add_f64 v[43:44], v[140:141], -v[204:205]
	v_add_f64 v[45:46], v[160:161], -v[168:169]
	v_add_f64 v[47:48], v[158:159], v[166:167]
	v_add_f64 v[51:52], v[152:153], -v[220:221]
	v_add_f64 v[53:54], v[132:133], -v[176:177]
	v_add_f64 v[55:56], v[180:181], -v[172:173]
	v_add_f64 v[61:62], v[178:179], v[170:171]
	v_add_f64 v[57:58], v[120:121], -v[112:113]
	;; [unrolled: 4-line block ×3, first 2 shown]
	s_mov_b32 s22, 0x37e14327
	s_mov_b32 s10, 0x36b3c0b5
	;; [unrolled: 1-line block ×9, first 2 shown]
	v_add_f64 v[41:42], v[7:8], v[5:6]
	s_mov_b32 s13, 0x3fe77f67
	v_add_f64 v[49:50], v[11:12], v[9:10]
	s_mov_b32 s17, 0xbfe77f67
	;; [unrolled: 2-line block ×3, first 2 shown]
	v_add_f64 v[65:66], v[19:20], v[17:18]
	v_add_f64 v[75:76], v[5:6], -v[27:28]
	v_add_f64 v[77:78], v[27:28], -v[7:8]
	v_add_f64 v[79:80], v[31:32], v[29:30]
	v_add_f64 v[5:6], v[7:8], -v[5:6]
	v_add_f64 v[71:72], v[23:24], -v[21:22]
	v_add_f64 v[73:74], v[21:22], -v[25:26]
	v_add_f64 v[21:22], v[23:24], v[21:22]
	v_add_f64 v[7:8], v[35:36], -v[33:34]
	;; [unrolled: 4-line block ×3, first 2 shown]
	v_add_f64 v[89:90], v[45:46], v[43:44]
	v_add_f64 v[43:44], v[43:44], -v[51:52]
	v_add_f64 v[91:92], v[47:48], -v[15:16]
	;; [unrolled: 1-line block ×4, first 2 shown]
	v_add_f64 v[95:96], v[55:56], v[53:54]
	v_add_f64 v[53:54], v[53:54], -v[57:58]
	v_add_f64 v[9:10], v[11:12], -v[9:10]
	;; [unrolled: 1-line block ×5, first 2 shown]
	s_mov_b32 s14, 0xb247c609
	s_mov_b32 s24, 0xaaaaaaaa
	;; [unrolled: 1-line block ×8, first 2 shown]
	v_add_f64 v[27:28], v[27:28], v[41:42]
	v_add_f64 v[41:42], v[37:38], -v[11:12]
	v_add_f64 v[37:38], v[37:38], v[49:50]
	v_add_f64 v[49:50], v[13:14], -v[47:48]
	;; [unrolled: 2-line block ×4, first 2 shown]
	v_mul_f64 v[75:76], v[75:76], s[22:23]
	v_mul_f64 v[244:245], v[77:78], s[10:11]
	v_add_f64 v[11:12], v[69:70], v[79:80]
	v_add_f64 v[79:80], v[63:64], -v[81:82]
	v_add_f64 v[69:70], v[29:30], -v[69:70]
	v_mul_f64 v[71:72], v[71:72], s[20:21]
	v_mul_f64 v[242:243], v[73:74], s[4:5]
	v_add_f64 v[17:18], v[19:20], -v[17:18]
	v_add_f64 v[19:20], v[57:58], -v[55:56]
	v_add_f64 v[29:30], v[31:32], -v[29:30]
	v_add_f64 v[31:32], v[67:68], v[63:64]
	v_mul_f64 v[7:8], v[7:8], s[20:21]
	v_mul_f64 v[55:56], v[85:86], s[4:5]
	v_add_f64 v[21:22], v[21:22], v[25:26]
	v_mul_f64 v[25:26], v[83:84], s[22:23]
	v_add_f64 v[33:34], v[33:34], v[39:40]
	v_add_f64 v[13:14], v[15:16], -v[13:14]
	v_add_f64 v[15:16], v[51:52], -v[45:46]
	;; [unrolled: 1-line block ×3, first 2 shown]
	v_mul_f64 v[67:68], v[87:88], s[20:21]
	v_mul_f64 v[87:88], v[43:44], s[4:5]
	;; [unrolled: 1-line block ×3, first 2 shown]
	v_add_f64 v[51:52], v[89:90], v[51:52]
	v_mul_f64 v[89:90], v[91:92], s[10:11]
	v_add_f64 v[57:58], v[95:96], v[57:58]
	v_mul_f64 v[95:96], v[53:54], s[4:5]
	s_load_b64 s[2:3], s[2:3], 0x0
	v_cmp_eq_u32_e64 s0, 0, v252
                                        ; implicit-def: $vgpr250_vgpr251
	v_add_f64 v[63:64], v[106:107], v[27:28]
	v_mul_f64 v[39:40], v[41:42], s[10:11]
	v_add_f64 v[83:84], v[102:103], v[37:38]
	v_mul_f64 v[49:50], v[49:50], s[22:23]
	;; [unrolled: 2-line block ×4, first 2 shown]
	v_mul_f64 v[65:66], v[65:66], s[20:21]
	v_mul_f64 v[102:103], v[240:241], s[10:11]
	v_fma_f64 v[77:78], v[77:78], s[10:11], v[75:76]
	v_fma_f64 v[106:107], v[5:6], s[12:13], -v[244:245]
	v_fma_f64 v[5:6], v[5:6], s[16:17], -v[75:76]
	v_add_f64 v[75:76], v[114:115], v[11:12]
	v_mul_f64 v[114:115], v[79:80], s[4:5]
	v_mul_f64 v[69:70], v[69:70], s[22:23]
	v_fma_f64 v[73:74], v[73:74], s[4:5], -v[71:72]
	v_fma_f64 v[71:72], v[23:24], s[14:15], v[71:72]
	v_fma_f64 v[23:24], v[23:24], s[18:19], -v[242:243]
	v_fma_f64 v[85:86], v[85:86], s[4:5], -v[7:8]
	v_fma_f64 v[7:8], v[35:36], s[14:15], v[7:8]
	v_fma_f64 v[35:36], v[35:36], s[18:19], -v[55:56]
	v_fma_f64 v[41:42], v[41:42], s[10:11], v[25:26]
	v_fma_f64 v[25:26], v[9:10], s[16:17], -v[25:26]
	v_add_f64 v[31:32], v[31:32], v[81:82]
	v_mul_hi_u32 v99, 0xaaaaaaab, v4
	v_fma_f64 v[43:44], v[43:44], s[4:5], -v[67:68]
	v_fma_f64 v[53:54], v[53:54], s[4:5], -v[93:94]
	v_fma_f64 v[27:28], v[27:28], s[24:25], v[63:64]
	v_fma_f64 v[9:10], v[9:10], s[12:13], -v[39:40]
	v_fma_f64 v[37:38], v[37:38], s[24:25], v[83:84]
	v_fma_f64 v[39:40], v[15:16], s[14:15], v[67:68]
	v_fma_f64 v[15:16], v[15:16], s[18:19], -v[87:88]
	v_fma_f64 v[55:56], v[91:92], s[10:11], v[49:50]
	v_fma_f64 v[47:48], v[47:48], s[24:25], v[246:247]
	v_fma_f64 v[67:68], v[13:14], s[12:13], -v[89:90]
	v_fma_f64 v[13:14], v[13:14], s[16:17], -v[49:50]
	v_fma_f64 v[87:88], v[19:20], s[14:15], v[93:94]
	v_fma_f64 v[49:50], v[238:239], s[10:11], v[0:1]
	;; [unrolled: 1-line block ×3, first 2 shown]
	v_fma_f64 v[19:20], v[19:20], s[18:19], -v[95:96]
	v_fma_f64 v[0:1], v[17:18], s[16:17], -v[0:1]
	;; [unrolled: 1-line block ×4, first 2 shown]
	v_fma_f64 v[65:66], v[45:46], s[14:15], v[65:66]
	v_fma_f64 v[79:80], v[29:30], s[12:13], -v[102:103]
	v_fma_f64 v[11:12], v[11:12], s[24:25], v[75:76]
	v_fma_f64 v[45:46], v[45:46], s[18:19], -v[114:115]
	v_fma_f64 v[29:30], v[29:30], s[16:17], -v[69:70]
	v_fma_f64 v[69:70], v[240:241], s[10:11], v[69:70]
	v_fma_f64 v[71:72], v[21:22], s[26:27], v[71:72]
	;; [unrolled: 1-line block ×8, first 2 shown]
	v_lshrrev_b32_e32 v89, 1, v99
	s_delay_alu instid0(VALU_DEP_1)
	v_lshl_add_u32 v81, v89, 1, v89
	v_add_f64 v[35:36], v[77:78], v[27:28]
	v_add_f64 v[5:6], v[5:6], v[27:28]
	;; [unrolled: 1-line block ×6, first 2 shown]
	v_fma_f64 v[39:40], v[51:52], s[26:27], v[39:40]
	v_fma_f64 v[15:16], v[51:52], s[26:27], v[15:16]
	;; [unrolled: 1-line block ×3, first 2 shown]
	v_add_f64 v[53:54], v[55:56], v[47:48]
	v_add_f64 v[13:14], v[13:14], v[47:48]
	;; [unrolled: 1-line block ×3, first 2 shown]
	v_fma_f64 v[37:38], v[57:58], s[26:27], v[87:88]
	v_add_f64 v[49:50], v[49:50], v[61:62]
	v_fma_f64 v[19:20], v[57:58], s[26:27], v[19:20]
	v_add_f64 v[0:1], v[0:1], v[61:62]
	v_add_f64 v[17:18], v[17:18], v[61:62]
	v_fma_f64 v[55:56], v[31:32], s[26:27], v[65:66]
	v_fma_f64 v[57:58], v[31:32], s[26:27], v[59:60]
	v_add_f64 v[59:60], v[79:80], v[11:12]
	v_fma_f64 v[31:32], v[31:32], s[26:27], v[45:46]
	v_add_f64 v[29:30], v[29:30], v[11:12]
	v_add_f64 v[11:12], v[69:70], v[11:12]
	v_sub_nc_u32_e32 v4, v4, v81
	s_delay_alu instid0(VALU_DEP_1) | instskip(NEXT) | instid1(VALU_DEP_1)
	v_mul_u32_u24_e32 v4, 0x253, v4
	v_lshlrev_b32_e32 v79, 3, v4
	s_delay_alu instid0(VALU_DEP_1)
	v_add_nc_u32_e32 v245, 0, v79
	v_add_f64 v[45:46], v[71:72], v[35:36]
	v_add_f64 v[61:62], v[21:22], v[5:6]
	v_add_f64 v[65:66], v[27:28], -v[73:74]
	v_add_f64 v[27:28], v[73:74], v[27:28]
	v_add_f64 v[4:5], v[5:6], -v[21:22]
	v_add_f64 v[21:22], v[7:8], v[41:42]
	v_add_f64 v[67:68], v[33:34], v[25:26]
	v_add_f64 v[69:70], v[9:10], -v[23:24]
	v_add_f64 v[9:10], v[23:24], v[9:10]
	v_add_f64 v[23:24], v[25:26], -v[33:34]
	v_add_f64 v[25:26], v[35:36], -v[71:72]
	;; [unrolled: 1-line block ×3, first 2 shown]
	v_add_f64 v[33:34], v[39:40], v[53:54]
	v_add_f64 v[35:36], v[15:16], v[13:14]
	v_add_f64 v[41:42], v[47:48], -v[43:44]
	v_add_f64 v[71:72], v[37:38], v[49:50]
	v_add_f64 v[73:74], v[19:20], v[0:1]
	v_add_f64 v[77:78], v[17:18], -v[51:52]
	v_add_f64 v[43:44], v[43:44], v[47:48]
	v_add_f64 v[13:14], v[13:14], -v[15:16]
	v_add_f64 v[15:16], v[49:50], -v[37:38]
	;; [unrolled: 1-line block ×3, first 2 shown]
	v_add_f64 v[17:18], v[51:52], v[17:18]
	v_add_f64 v[19:20], v[0:1], -v[19:20]
	v_add_f64 v[49:50], v[31:32], v[29:30]
	v_add_f64 v[51:52], v[55:56], v[11:12]
	v_add_f64 v[39:40], v[59:60], -v[57:58]
	v_add_f64 v[47:48], v[57:58], v[59:60]
	v_add_f64 v[29:30], v[29:30], -v[31:32]
	v_add_f64 v[238:239], v[11:12], -v[55:56]
	v_lshlrev_b32_e32 v0, 3, v252
	v_mad_u32_u24 v1, v252, 56, v245
	scratch_store_b32 off, v79, off         ; 4-byte Folded Spill
	v_add3_u32 v244, 0, v0, v79
	v_add_nc_u32_e32 v248, v245, v0
	v_add_nc_u32_e32 v32, 0xef8, v1
	;; [unrolled: 1-line block ×11, first 2 shown]
	ds_store_2addr_b64 v1, v[63:64], v[45:46] offset1:1
	ds_store_2addr_b64 v1, v[61:62], v[65:66] offset0:2 offset1:3
	ds_store_2addr_b64 v1, v[27:28], v[4:5] offset0:4 offset1:5
	;; [unrolled: 1-line block ×6, first 2 shown]
	ds_store_2addr_b64 v0, v[246:247], v[33:34] offset1:1
	ds_store_2addr_b64 v8, v[35:36], v[41:42] offset1:1
	ds_store_2addr_b64 v1, v[97:98], v[71:72] offset0:238 offset1:239
	ds_store_2addr_b64 v1, v[73:74], v[77:78] offset0:240 offset1:241
	ds_store_2addr_b64 v11, v[43:44], v[13:14] offset1:1
	ds_store_2addr_b64 v12, v[15:16], v[37:38] offset0:116 offset1:235
	ds_store_2addr_b64 v1, v[17:18], v[19:20] offset0:242 offset1:243
	ds_store_b64 v1, v[75:76] offset:3808
	ds_store_2addr_b64 v31, v[51:52], v[49:50] offset1:1
	ds_store_2addr_b64 v32, v[39:40], v[47:48] offset1:1
	;; [unrolled: 1-line block ×3, first 2 shown]
	s_waitcnt lgkmcnt(0)
	s_waitcnt_vscnt null, 0x0
	s_barrier
	buffer_gl0_inv
	ds_load_2addr_b64 v[4:7], v244 offset0:17 offset1:35
	ds_load_b64 v[240:241], v248
	ds_load_b64 v[242:243], v244 offset:4616
	ds_load_2addr_b64 v[96:99], v244 offset0:52 offset1:70
	ds_load_2addr_b64 v[92:95], v244 offset0:87 offset1:105
	ds_load_2addr_b64 v[88:91], v244 offset0:122 offset1:140
	ds_load_2addr_b64 v[84:87], v244 offset0:157 offset1:175
	ds_load_2addr_b64 v[80:83], v244 offset0:192 offset1:210
	ds_load_2addr_b64 v[76:79], v244 offset0:227 offset1:245
	ds_load_2addr_b64 v[72:75], v102 offset0:6 offset1:24
	ds_load_2addr_b64 v[68:71], v102 offset0:41 offset1:59
	ds_load_2addr_b64 v[64:67], v102 offset0:76 offset1:94
	ds_load_2addr_b64 v[60:63], v102 offset0:111 offset1:129
	ds_load_2addr_b64 v[56:59], v102 offset0:146 offset1:164
	ds_load_2addr_b64 v[52:55], v102 offset0:181 offset1:199
	ds_load_2addr_b64 v[48:51], v102 offset0:216 offset1:234
	ds_load_2addr_b64 v[44:47], v103 offset0:123 offset1:141
	ds_load_2addr_b64 v[32:35], v106 offset0:30 offset1:48
	v_add_nc_u32_e32 v115, 0x3b8, v1
	v_add_nc_u32_e32 v114, 0x770, v1
	;; [unrolled: 1-line block ×3, first 2 shown]
                                        ; implicit-def: $vgpr10_vgpr11
                                        ; implicit-def: $vgpr14_vgpr15
                                        ; implicit-def: $vgpr18_vgpr19
                                        ; implicit-def: $vgpr22_vgpr23
                                        ; implicit-def: $vgpr26_vgpr27
                                        ; implicit-def: $vgpr30_vgpr31
                                        ; implicit-def: $vgpr42_vgpr43
                                        ; implicit-def: $vgpr38_vgpr39
	s_and_saveexec_b32 s1, s0
	s_cbranch_execz .LBB0_14
; %bb.13:
	ds_load_2addr_b64 v[36:39], v245 offset0:34 offset1:69
	v_add_nc_u32_e32 v8, 0x400, v245
	v_add_nc_u32_e32 v9, 0x800, v245
	;; [unrolled: 1-line block ×3, first 2 shown]
	ds_load_2addr_b64 v[40:43], v245 offset0:104 offset1:139
	ds_load_2addr_b64 v[28:31], v245 offset0:174 offset1:209
	s_waitcnt lgkmcnt(2)
	v_dual_mov_b32 v239, v37 :: v_dual_mov_b32 v238, v36
	ds_load_2addr_b64 v[24:27], v8 offset0:116 offset1:151
	ds_load_2addr_b64 v[20:23], v9 offset0:58 offset1:93
	;; [unrolled: 1-line block ×5, first 2 shown]
	ds_load_b64 v[250:251], v245 offset:4752
.LBB0_14:
	s_or_b32 exec_lo, exec_lo, s1
	v_add_f64 v[36:37], v[232:233], v[144:145]
	v_add_f64 v[136:137], v[224:225], v[136:137]
	;; [unrolled: 1-line block ×11, first 2 shown]
	v_add_f64 v[134:135], v[134:135], -v[222:223]
	v_add_f64 v[156:157], v[210:211], -v[186:187]
	v_add_f64 v[142:143], v[142:143], -v[230:231]
	v_add_f64 v[176:177], v[192:193], v[196:197]
	v_add_f64 v[122:123], v[122:123], -v[198:199]
	v_add_f64 v[188:189], v[190:191], -v[194:195]
	v_add_f64 v[126:127], v[126:127], -v[226:227]
	v_add_f64 v[172:173], v[180:181], v[172:173]
	;; [unrolled: 4-line block ×3, first 2 shown]
	v_add_f64 v[138:139], v[138:139], -v[202:203]
	v_add_f64 v[158:159], v[158:159], -v[166:167]
	;; [unrolled: 1-line block ×4, first 2 shown]
	v_add_f64 v[164:165], v[184:185], v[164:165]
	v_add_f64 v[162:163], v[182:183], -v[162:163]
	v_add_f64 v[146:147], v[146:147], -v[214:215]
	s_waitcnt lgkmcnt(0)
	s_barrier
	buffer_gl0_inv
	v_add_f64 v[186:187], v[136:137], v[36:37]
	v_add_f64 v[180:181], v[124:125], v[128:129]
	;; [unrolled: 1-line block ×5, first 2 shown]
	v_add_f64 v[174:175], v[36:37], -v[152:153]
	v_add_f64 v[178:179], v[152:153], -v[136:137]
	;; [unrolled: 1-line block ×9, first 2 shown]
	v_add_f64 v[134:135], v[156:157], v[134:135]
	v_add_f64 v[198:199], v[170:171], -v[130:131]
	v_add_f64 v[200:201], v[130:131], -v[110:111]
	;; [unrolled: 1-line block ×6, first 2 shown]
	v_add_f64 v[130:131], v[170:171], v[130:131]
	v_add_f64 v[138:139], v[158:159], v[138:139]
	v_add_f64 v[206:207], v[162:163], -v[154:155]
	v_add_f64 v[208:209], v[154:155], -v[146:147]
	v_add_f64 v[154:155], v[162:163], v[154:155]
	v_add_f64 v[124:125], v[124:125], -v[128:129]
	v_add_f64 v[112:113], v[120:121], -v[112:113]
	;; [unrolled: 1-line block ×5, first 2 shown]
	v_add_f64 v[152:153], v[152:153], v[186:187]
	v_add_f64 v[186:187], v[188:189], -v[122:123]
	v_add_f64 v[176:177], v[176:177], v[180:181]
	v_add_f64 v[180:181], v[172:173], -v[120:121]
	;; [unrolled: 2-line block ×4, first 2 shown]
	v_add_f64 v[168:169], v[164:165], v[168:169]
	v_add_f64 v[122:123], v[188:189], v[122:123]
	v_add_f64 v[164:165], v[164:165], -v[148:149]
	v_mul_f64 v[174:175], v[174:175], s[22:23]
	v_mul_f64 v[210:211], v[178:179], s[10:11]
	v_mul_f64 v[128:129], v[182:183], s[20:21]
	v_add_f64 v[182:183], v[126:127], -v[188:189]
	v_mul_f64 v[188:189], v[184:185], s[4:5]
	v_mul_f64 v[190:191], v[190:191], s[22:23]
	v_mul_f64 v[212:213], v[192:193], s[10:11]
	v_mul_f64 v[196:197], v[196:197], s[22:23]
	v_add_f64 v[132:133], v[140:141], -v[132:133]
	v_mul_f64 v[140:141], v[198:199], s[20:21]
	;; [unrolled: 5-line block ×3, first 2 shown]
	v_add_f64 v[134:135], v[134:135], v[142:143]
	v_mul_f64 v[206:207], v[206:207], s[20:21]
	v_mul_f64 v[142:143], v[208:209], s[4:5]
	v_add_f64 v[110:111], v[130:131], v[110:111]
	v_add_f64 v[130:131], v[138:139], v[150:151]
	;; [unrolled: 1-line block ×4, first 2 shown]
	v_mul_f64 v[120:121], v[186:187], s[20:21]
	v_mul_f64 v[186:187], v[194:195], s[4:5]
	v_add_f64 v[104:105], v[104:105], v[176:177]
	v_mul_f64 v[214:215], v[180:181], s[10:11]
	v_add_f64 v[100:101], v[100:101], v[118:119]
	;; [unrolled: 2-line block ×4, first 2 shown]
	v_add_f64 v[122:123], v[122:123], v[126:127]
	v_mul_f64 v[126:127], v[164:165], s[10:11]
	v_fma_f64 v[146:147], v[178:179], s[10:11], v[174:175]
	v_fma_f64 v[150:151], v[36:37], s[12:13], -v[210:211]
	v_fma_f64 v[36:37], v[36:37], s[16:17], -v[174:175]
	v_fma_f64 v[154:155], v[156:157], s[14:15], v[128:129]
	v_fma_f64 v[128:129], v[184:185], s[4:5], -v[128:129]
	v_fma_f64 v[156:157], v[156:157], s[18:19], -v[188:189]
	;; [unrolled: 3-line block ×3, first 2 shown]
	v_fma_f64 v[180:181], v[180:181], s[10:11], v[196:197]
	v_fma_f64 v[188:189], v[170:171], s[14:15], v[140:141]
	v_fma_f64 v[140:141], v[200:201], s[4:5], -v[140:141]
	v_fma_f64 v[170:171], v[170:171], s[18:19], -v[198:199]
	;; [unrolled: 1-line block ×6, first 2 shown]
	v_fma_f64 v[152:153], v[152:153], s[24:25], v[108:109]
	v_fma_f64 v[184:185], v[182:183], s[14:15], v[120:121]
	v_fma_f64 v[120:121], v[194:195], s[4:5], -v[120:121]
	v_fma_f64 v[182:183], v[182:183], s[18:19], -v[186:187]
	v_fma_f64 v[176:177], v[176:177], s[24:25], v[104:105]
	v_fma_f64 v[186:187], v[112:113], s[12:13], -v[214:215]
	v_fma_f64 v[112:113], v[112:113], s[16:17], -v[196:197]
	v_fma_f64 v[118:119], v[118:119], s[24:25], v[100:101]
	v_fma_f64 v[190:191], v[202:203], s[10:11], v[172:173]
	;; [unrolled: 1-line block ×4, first 2 shown]
	v_fma_f64 v[132:133], v[132:133], s[16:17], -v[172:173]
	v_fma_f64 v[160:161], v[164:165], s[10:11], v[166:167]
	v_fma_f64 v[164:165], v[162:163], s[14:15], v[206:207]
	v_fma_f64 v[172:173], v[208:209], s[4:5], -v[206:207]
	v_fma_f64 v[162:163], v[168:169], s[24:25], v[116:117]
	v_fma_f64 v[166:167], v[144:145], s[16:17], -v[166:167]
	v_fma_f64 v[126:127], v[144:145], s[12:13], -v[126:127]
	v_fma_f64 v[144:145], v[134:135], s[26:27], v[154:155]
	v_fma_f64 v[128:129], v[134:135], s[26:27], v[128:129]
	;; [unrolled: 1-line block ×7, first 2 shown]
	v_add_f64 v[146:147], v[146:147], v[152:153]
	v_add_f64 v[36:37], v[36:37], v[152:153]
	;; [unrolled: 1-line block ×3, first 2 shown]
	v_fma_f64 v[152:153], v[122:123], s[26:27], v[184:185]
	v_fma_f64 v[120:121], v[122:123], s[26:27], v[120:121]
	v_fma_f64 v[122:123], v[122:123], s[26:27], v[182:183]
	v_add_f64 v[154:155], v[174:175], v[176:177]
	v_add_f64 v[124:125], v[124:125], v[176:177]
	;; [unrolled: 1-line block ×4, first 2 shown]
	v_fma_f64 v[174:175], v[130:131], s[26:27], v[194:195]
	v_fma_f64 v[130:131], v[130:131], s[26:27], v[148:149]
	v_add_f64 v[148:149], v[190:191], v[158:159]
	v_add_f64 v[132:133], v[132:133], v[158:159]
	;; [unrolled: 1-line block ×3, first 2 shown]
	v_fma_f64 v[164:165], v[138:139], s[26:27], v[164:165]
	v_fma_f64 v[172:173], v[138:139], s[26:27], v[172:173]
	;; [unrolled: 1-line block ×3, first 2 shown]
	v_add_f64 v[142:143], v[160:161], v[162:163]
	v_add_f64 v[160:161], v[166:167], v[162:163]
	;; [unrolled: 1-line block ×5, first 2 shown]
	v_add_f64 v[162:163], v[146:147], -v[144:145]
	v_add_f64 v[166:167], v[36:37], -v[134:135]
	v_add_f64 v[176:177], v[128:129], v[150:151]
	v_add_f64 v[150:151], v[150:151], -v[128:129]
	v_add_f64 v[36:37], v[134:135], v[36:37]
	v_add_f64 v[134:135], v[144:145], v[146:147]
	v_add_f64 v[144:145], v[154:155], -v[152:153]
	v_add_f64 v[146:147], v[124:125], -v[122:123]
	v_add_f64 v[122:123], v[122:123], v[124:125]
	v_add_f64 v[124:125], v[152:153], v[154:155]
	v_add_f64 v[152:153], v[170:171], -v[168:169]
	v_add_f64 v[154:155], v[112:113], -v[110:111]
	v_add_f64 v[110:111], v[110:111], v[112:113]
	v_add_f64 v[112:113], v[168:169], v[170:171]
	;; [unrolled: 1-line block ×3, first 2 shown]
	v_add_f64 v[136:137], v[158:159], -v[136:137]
	v_add_f64 v[168:169], v[132:133], -v[130:131]
	v_add_f64 v[130:131], v[130:131], v[132:133]
	v_add_f64 v[128:129], v[164:165], v[142:143]
	v_add_f64 v[158:159], v[160:161], -v[138:139]
	v_add_f64 v[138:139], v[138:139], v[160:161]
	v_add_f64 v[178:179], v[120:121], v[156:157]
	v_add_f64 v[120:121], v[156:157], -v[120:121]
	v_add_f64 v[156:157], v[140:141], v[118:119]
	v_add_f64 v[118:119], v[118:119], -v[140:141]
	v_add_f64 v[140:141], v[148:149], -v[174:175]
	v_add_f64 v[132:133], v[174:175], v[148:149]
	v_add_f64 v[148:149], v[142:143], -v[164:165]
	v_add_f64 v[174:175], v[172:173], v[126:127]
	v_add_f64 v[126:127], v[126:127], -v[172:173]
	ds_store_2addr_b64 v1, v[108:109], v[162:163] offset1:1
	ds_store_2addr_b64 v1, v[166:167], v[176:177] offset0:2 offset1:3
	ds_store_2addr_b64 v1, v[150:151], v[36:37] offset0:4 offset1:5
	ds_store_b64 v1, v[134:135] offset:48
	ds_store_2addr_b64 v115, v[104:105], v[144:145] offset1:1
	ds_store_2addr_b64 v115, v[146:147], v[178:179] offset0:2 offset1:3
	ds_store_2addr_b64 v115, v[120:121], v[122:123] offset0:4 offset1:5
	ds_store_b64 v115, v[124:125] offset:48
	ds_store_2addr_b64 v114, v[100:101], v[152:153] offset1:1
	ds_store_2addr_b64 v114, v[154:155], v[156:157] offset0:2 offset1:3
	ds_store_2addr_b64 v114, v[118:119], v[110:111] offset0:4 offset1:5
	ds_store_b64 v114, v[112:113] offset:48
	ds_store_2addr_b64 v0, v[2:3], v[140:141] offset1:1
	ds_store_2addr_b64 v0, v[168:169], v[170:171] offset0:2 offset1:3
	ds_store_2addr_b64 v0, v[136:137], v[130:131] offset0:4 offset1:5
	ds_store_b64 v0, v[132:133] offset:48
	ds_store_b64 v107, v[116:117]
	ds_store_2addr_b64 v107, v[148:149], v[158:159] offset0:1 offset1:2
	ds_store_2addr_b64 v107, v[174:175], v[126:127] offset0:3 offset1:4
                                        ; implicit-def: $vgpr110_vgpr111
                                        ; implicit-def: $vgpr114_vgpr115
                                        ; implicit-def: $vgpr118_vgpr119
                                        ; implicit-def: $vgpr122_vgpr123
                                        ; implicit-def: $vgpr134_vgpr135
                                        ; implicit-def: $vgpr130_vgpr131
	scratch_store_b64 off, v[128:129], off offset:340 ; 8-byte Folded Spill
	ds_store_2addr_b64 v107, v[138:139], v[128:129] offset0:5 offset1:6
	s_waitcnt lgkmcnt(0)
	s_waitcnt_vscnt null, 0x0
	s_barrier
	buffer_gl0_inv
	ds_load_2addr_b64 v[0:3], v244 offset0:17 offset1:35
	ds_load_2addr_b64 v[188:191], v244 offset0:52 offset1:70
	;; [unrolled: 1-line block ×16, first 2 shown]
	scratch_store_b32 off, v248, off offset:56 ; 4-byte Folded Spill
	ds_load_b64 v[196:197], v248
	ds_load_b64 v[246:247], v244 offset:4616
                                        ; implicit-def: $vgpr248_vgpr249
                                        ; implicit-def: $vgpr102_vgpr103
                                        ; implicit-def: $vgpr106_vgpr107
	s_and_saveexec_b32 s1, s0
	s_cbranch_execz .LBB0_16
; %bb.15:
	ds_load_2addr_b64 v[128:131], v245 offset0:34 offset1:69
	v_add_nc_u32_e32 v36, 0x400, v245
	v_add_nc_u32_e32 v37, 0x800, v245
	;; [unrolled: 1-line block ×3, first 2 shown]
	ds_load_2addr_b64 v[132:135], v245 offset0:104 offset1:139
	ds_load_2addr_b64 v[120:123], v245 offset0:174 offset1:209
	;; [unrolled: 1-line block ×7, first 2 shown]
	ds_load_b64 v[248:249], v245 offset:4752
	s_waitcnt lgkmcnt(8)
	v_dual_mov_b32 v36, v128 :: v_dual_mov_b32 v37, v129
	scratch_store_b64 off, v[36:37], off offset:340 ; 8-byte Folded Spill
.LBB0_16:
	s_or_b32 exec_lo, exec_lo, s1
	v_and_b32_e32 v36, 0xff, v252
	s_mov_b32 s4, 0x2a9d6da3
	s_mov_b32 s5, 0xbfe58eea
	;; [unrolled: 1-line block ×4, first 2 shown]
	v_mul_lo_u16 v36, v36, 37
	s_mov_b32 s10, 0xeb564b22
	s_mov_b32 s11, 0xbfefdd0d
	;; [unrolled: 1-line block ×4, first 2 shown]
	v_lshrrev_b16 v36, 8, v36
	s_mov_b32 s16, 0x7c9e640b
	s_mov_b32 s17, 0xbfeca52d
	s_mov_b32 s20, 0x2b2883cd
	s_mov_b32 s21, 0x3fdc86fa
	v_sub_nc_u16 v37, v252, v36
	s_mov_b32 s18, 0x6c9a05f6
	s_mov_b32 s19, 0xbfe9895b
	;; [unrolled: 1-line block ×4, first 2 shown]
	v_lshrrev_b16 v37, 1, v37
	s_mov_b32 s24, 0xacd6c6b4
	s_mov_b32 s25, 0xbfc7851a
	;; [unrolled: 1-line block ×4, first 2 shown]
	v_and_b32_e32 v37, 0x7f, v37
	s_mov_b32 s28, 0x7faef3
	s_mov_b32 s29, 0xbfef7484
	s_mov_b32 s30, 0x923c349f
	s_mov_b32 s31, 0xbfeec746
	v_add_nc_u16 v36, v37, v36
	s_mov_b32 s35, 0x3feec746
	s_mov_b32 s34, s30
	s_mov_b32 s40, 0xc61f0d01
	s_mov_b32 s36, 0x4363dd80
	v_lshrrev_b16 v36, 2, v36
	s_mov_b32 s41, 0xbfd183b1
	s_mov_b32 s37, 0xbfe0d888
	;; [unrolled: 1-line block ×4, first 2 shown]
	scratch_store_b32 off, v36, off offset:316 ; 4-byte Folded Spill
	v_mul_lo_u16 v36, v36, 7
	s_mov_b32 s42, 0x910ea3b9
	s_mov_b32 s43, 0xbfeb34fa
	;; [unrolled: 1-line block ×4, first 2 shown]
	v_sub_nc_u16 v36, v252, v36
	s_mov_b32 s46, 0x5d8e7cdc
	s_mov_b32 s47, 0xbfd71e95
	s_mov_b32 s50, 0x370991
	s_mov_b32 s51, 0x3fedd6d0
	v_and_b32_e32 v245, 0xff, v36
	s_mov_b32 s49, 0x3feca52d
	s_mov_b32 s48, s16
	s_mov_b32 s53, 0x3fd71e95
	s_mov_b32 s52, s46
	v_lshlrev_b32_e32 v230, 8, v245
	s_mov_b32 s55, 0x3fefdd0d
	s_mov_b32 s54, s10
	;; [unrolled: 1-line block ×3, first 2 shown]
	s_clause 0x1
	global_load_b128 v[192:195], v230, s[8:9] offset:16
	global_load_b128 v[204:207], v230, s[8:9]
	s_mov_b32 s56, s18
	s_waitcnt vmcnt(1) lgkmcnt(16)
	v_mul_f64 v[198:199], v[190:191], v[194:195]
	s_delay_alu instid0(VALU_DEP_1) | instskip(SKIP_1) | instid1(VALU_DEP_1)
	v_fma_f64 v[226:227], v[98:99], v[192:193], v[198:199]
	v_mul_f64 v[98:99], v[98:99], v[194:195]
	v_fma_f64 v[224:225], v[190:191], v[192:193], -v[98:99]
	v_add_nc_u32_e32 v99, 17, v252
	s_delay_alu instid0(VALU_DEP_1) | instskip(SKIP_2) | instid1(VALU_DEP_1)
	v_and_b32_e32 v37, 0xff, v99
	scratch_store_b32 off, v99, off offset:628 ; 4-byte Folded Spill
	v_mul_lo_u16 v37, v37, 37
	v_lshrrev_b16 v37, 8, v37
	s_delay_alu instid0(VALU_DEP_1) | instskip(NEXT) | instid1(VALU_DEP_1)
	v_sub_nc_u16 v98, v99, v37
	v_lshrrev_b16 v98, 1, v98
	s_delay_alu instid0(VALU_DEP_1) | instskip(NEXT) | instid1(VALU_DEP_1)
	v_and_b32_e32 v98, 0x7f, v98
	v_add_nc_u16 v37, v98, v37
	s_delay_alu instid0(VALU_DEP_1) | instskip(NEXT) | instid1(VALU_DEP_1)
	v_lshrrev_b16 v233, 2, v37
	v_mul_lo_u16 v98, v233, 7
	s_delay_alu instid0(VALU_DEP_1) | instskip(NEXT) | instid1(VALU_DEP_1)
	v_sub_nc_u16 v98, v99, v98
	v_and_b32_e32 v98, 0xff, v98
	s_delay_alu instid0(VALU_DEP_1)
	v_lshlrev_b32_e32 v99, 8, v98
	s_clause 0x1
	global_load_b128 v[190:193], v99, s[8:9]
	global_load_b128 v[200:203], v99, s[8:9] offset:16
	s_waitcnt vmcnt(1)
	v_mul_f64 v[194:195], v[188:189], v[192:193]
	s_delay_alu instid0(VALU_DEP_1)
	v_fma_f64 v[36:37], v[96:97], v[190:191], v[194:195]
	v_mul_f64 v[96:97], v[96:97], v[192:193]
	scratch_store_b64 off, v[36:37], off offset:584 ; 8-byte Folded Spill
	v_fma_f64 v[36:37], v[188:189], v[190:191], -v[96:97]
	scratch_store_b64 off, v[36:37], off offset:592 ; 8-byte Folded Spill
	s_clause 0x1
	global_load_b128 v[188:191], v230, s[8:9] offset:32
	global_load_b128 v[192:195], v230, s[8:9] offset:48
	s_waitcnt vmcnt(1) lgkmcnt(15)
	v_mul_f64 v[96:97], v[186:187], v[190:191]
	s_delay_alu instid0(VALU_DEP_1) | instskip(SKIP_1) | instid1(VALU_DEP_1)
	v_fma_f64 v[228:229], v[94:95], v[188:189], v[96:97]
	v_mul_f64 v[94:95], v[94:95], v[190:191]
	v_fma_f64 v[220:221], v[186:187], v[188:189], -v[94:95]
	v_mul_f64 v[94:95], v[184:185], v[202:203]
	s_delay_alu instid0(VALU_DEP_1) | instskip(SKIP_1) | instid1(VALU_DEP_1)
	v_fma_f64 v[210:211], v[92:93], v[200:201], v[94:95]
	v_mul_f64 v[92:93], v[92:93], v[202:203]
	v_fma_f64 v[212:213], v[184:185], v[200:201], -v[92:93]
	s_waitcnt vmcnt(0) lgkmcnt(14)
	v_mul_f64 v[92:93], v[182:183], v[194:195]
	s_delay_alu instid0(VALU_DEP_1) | instskip(SKIP_1) | instid1(VALU_DEP_1)
	v_fma_f64 v[231:232], v[90:91], v[192:193], v[92:93]
	v_mul_f64 v[90:91], v[90:91], v[194:195]
	v_fma_f64 v[218:219], v[182:183], v[192:193], -v[90:91]
	s_clause 0x1
	global_load_b128 v[90:93], v99, s[8:9] offset:32
	global_load_b128 v[94:97], v99, s[8:9] offset:48
	s_waitcnt vmcnt(1)
	v_mul_f64 v[182:183], v[180:181], v[92:93]
	s_delay_alu instid0(VALU_DEP_1) | instskip(SKIP_1) | instid1(VALU_DEP_1)
	v_fma_f64 v[202:203], v[88:89], v[90:91], v[182:183]
	v_mul_f64 v[88:89], v[88:89], v[92:93]
	v_fma_f64 v[208:209], v[180:181], v[90:91], -v[88:89]
	s_clause 0x1
	global_load_b128 v[88:91], v230, s[8:9] offset:64
	global_load_b128 v[192:195], v230, s[8:9] offset:80
	s_waitcnt vmcnt(1) lgkmcnt(13)
	v_mul_f64 v[92:93], v[178:179], v[90:91]
	s_delay_alu instid0(VALU_DEP_1) | instskip(SKIP_1) | instid1(VALU_DEP_1)
	v_fma_f64 v[36:37], v[86:87], v[88:89], v[92:93]
	v_mul_f64 v[86:87], v[86:87], v[90:91]
	v_fma_f64 v[216:217], v[178:179], v[88:89], -v[86:87]
	v_mul_f64 v[86:87], v[176:177], v[96:97]
	s_delay_alu instid0(VALU_DEP_1) | instskip(SKIP_1) | instid1(VALU_DEP_1)
	v_fma_f64 v[198:199], v[84:85], v[94:95], v[86:87]
	v_mul_f64 v[84:85], v[84:85], v[96:97]
	v_fma_f64 v[200:201], v[176:177], v[94:95], -v[84:85]
	s_waitcnt vmcnt(0) lgkmcnt(12)
	v_mul_f64 v[84:85], v[174:175], v[194:195]
	s_delay_alu instid0(VALU_DEP_1) | instskip(SKIP_1) | instid1(VALU_DEP_1)
	v_fma_f64 v[96:97], v[82:83], v[192:193], v[84:85]
	v_mul_f64 v[82:83], v[82:83], v[194:195]
	v_fma_f64 v[253:254], v[174:175], v[192:193], -v[82:83]
	s_clause 0x1
	global_load_b128 v[82:85], v99, s[8:9] offset:64
	global_load_b128 v[86:89], v99, s[8:9] offset:80
	s_waitcnt vmcnt(1)
	v_mul_f64 v[90:91], v[172:173], v[84:85]
	s_delay_alu instid0(VALU_DEP_1) | instskip(SKIP_1) | instid1(VALU_DEP_1)
	v_fma_f64 v[192:193], v[80:81], v[82:83], v[90:91]
	v_mul_f64 v[80:81], v[80:81], v[84:85]
	v_fma_f64 v[194:195], v[172:173], v[82:83], -v[80:81]
	;; [unrolled: 29-line block ×3, first 2 shown]
	s_clause 0x1
	global_load_b128 v[72:75], v230, s[8:9] offset:128
	global_load_b128 v[82:85], v230, s[8:9] offset:144
	s_waitcnt vmcnt(1) lgkmcnt(9)
	v_mul_f64 v[76:77], v[162:163], v[74:75]
	s_delay_alu instid0(VALU_DEP_1) | instskip(SKIP_1) | instid1(VALU_DEP_1)
	v_fma_f64 v[168:169], v[70:71], v[72:73], v[76:77]
	v_mul_f64 v[70:71], v[70:71], v[74:75]
	v_fma_f64 v[92:93], v[162:163], v[72:73], -v[70:71]
	v_mul_f64 v[70:71], v[160:161], v[80:81]
	s_delay_alu instid0(VALU_DEP_1) | instskip(SKIP_1) | instid1(VALU_DEP_1)
	v_fma_f64 v[164:165], v[68:69], v[78:79], v[70:71]
	v_mul_f64 v[68:69], v[68:69], v[80:81]
	v_fma_f64 v[176:177], v[160:161], v[78:79], -v[68:69]
	s_waitcnt vmcnt(0) lgkmcnt(8)
	v_mul_f64 v[68:69], v[158:159], v[84:85]
	s_delay_alu instid0(VALU_DEP_1) | instskip(SKIP_4) | instid1(VALU_DEP_1)
	v_fma_f64 v[214:215], v[66:67], v[82:83], v[68:69]
	s_clause 0x1
	global_load_b128 v[68:71], v99, s[8:9] offset:128
	global_load_b128 v[72:75], v99, s[8:9] offset:144
	v_mul_f64 v[66:67], v[66:67], v[84:85]
	v_fma_f64 v[82:83], v[158:159], v[82:83], -v[66:67]
	s_waitcnt vmcnt(1)
	v_mul_f64 v[66:67], v[156:157], v[70:71]
	s_delay_alu instid0(VALU_DEP_1) | instskip(SKIP_1) | instid1(VALU_DEP_1)
	v_fma_f64 v[172:173], v[64:65], v[68:69], v[66:67]
	v_mul_f64 v[64:65], v[64:65], v[70:71]
	v_fma_f64 v[128:129], v[156:157], v[68:69], -v[64:65]
	s_clause 0x1
	global_load_b128 v[68:71], v230, s[8:9] offset:160
	global_load_b128 v[76:79], v230, s[8:9] offset:176
	s_waitcnt vmcnt(1) lgkmcnt(7)
	v_mul_f64 v[80:81], v[154:155], v[70:71]
	s_delay_alu instid0(VALU_DEP_1) | instskip(SKIP_1) | instid1(VALU_DEP_1)
	v_fma_f64 v[156:157], v[62:63], v[68:69], v[80:81]
	v_mul_f64 v[62:63], v[62:63], v[70:71]
	v_fma_f64 v[64:65], v[154:155], v[68:69], -v[62:63]
	v_mul_f64 v[62:63], v[152:153], v[74:75]
	s_waitcnt vmcnt(0) lgkmcnt(6)
	v_mul_f64 v[68:69], v[150:151], v[78:79]
	s_delay_alu instid0(VALU_DEP_2) | instskip(SKIP_1) | instid1(VALU_DEP_1)
	v_fma_f64 v[158:159], v[60:61], v[72:73], v[62:63]
	v_mul_f64 v[60:61], v[60:61], v[74:75]
	v_fma_f64 v[154:155], v[152:153], v[72:73], -v[60:61]
	s_delay_alu instid0(VALU_DEP_4) | instskip(SKIP_4) | instid1(VALU_DEP_1)
	v_fma_f64 v[152:153], v[58:59], v[76:77], v[68:69]
	s_clause 0x1
	global_load_b128 v[68:71], v99, s[8:9] offset:160
	global_load_b128 v[72:75], v99, s[8:9] offset:176
	v_mul_f64 v[58:59], v[58:59], v[78:79]
	v_fma_f64 v[62:63], v[150:151], v[76:77], -v[58:59]
	s_waitcnt vmcnt(1)
	v_mul_f64 v[58:59], v[148:149], v[70:71]
	s_delay_alu instid0(VALU_DEP_1) | instskip(SKIP_1) | instid1(VALU_DEP_1)
	v_fma_f64 v[188:189], v[56:57], v[68:69], v[58:59]
	v_mul_f64 v[56:57], v[56:57], v[70:71]
	v_fma_f64 v[184:185], v[148:149], v[68:69], -v[56:57]
	s_clause 0x1
	global_load_b128 v[68:71], v230, s[8:9] offset:192
	global_load_b128 v[76:79], v230, s[8:9] offset:208
	s_waitcnt vmcnt(1) lgkmcnt(5)
	v_mul_f64 v[80:81], v[146:147], v[70:71]
	s_delay_alu instid0(VALU_DEP_1) | instskip(SKIP_1) | instid1(VALU_DEP_1)
	v_fma_f64 v[222:223], v[54:55], v[68:69], v[80:81]
	v_mul_f64 v[54:55], v[54:55], v[70:71]
	v_fma_f64 v[54:55], v[146:147], v[68:69], -v[54:55]
	v_mul_f64 v[68:69], v[144:145], v[74:75]
	s_delay_alu instid0(VALU_DEP_1)
	v_fma_f64 v[56:57], v[52:53], v[72:73], v[68:69]
	v_mul_f64 v[52:53], v[52:53], v[74:75]
	s_waitcnt vmcnt(0) lgkmcnt(4)
	v_mul_f64 v[68:69], v[142:143], v[78:79]
	scratch_store_b64 off, v[56:57], off offset:600 ; 8-byte Folded Spill
	v_fma_f64 v[150:151], v[144:145], v[72:73], -v[52:53]
	v_fma_f64 v[52:53], v[50:51], v[76:77], v[68:69]
	s_clause 0x1
	global_load_b128 v[68:71], v99, s[8:9] offset:192
	global_load_b128 v[72:75], v99, s[8:9] offset:208
	v_mul_f64 v[50:51], v[50:51], v[78:79]
	s_delay_alu instid0(VALU_DEP_1) | instskip(SKIP_2) | instid1(VALU_DEP_1)
	v_fma_f64 v[50:51], v[142:143], v[76:77], -v[50:51]
	s_waitcnt vmcnt(1)
	v_mul_f64 v[76:77], v[140:141], v[70:71]
	v_fma_f64 v[56:57], v[48:49], v[68:69], v[76:77]
	v_mul_f64 v[48:49], v[48:49], v[70:71]
	scratch_store_b64 off, v[56:57], off offset:608 ; 8-byte Folded Spill
	v_fma_f64 v[146:147], v[140:141], v[68:69], -v[48:49]
	s_clause 0x1
	global_load_b128 v[68:71], v230, s[8:9] offset:224
	global_load_b128 v[76:79], v230, s[8:9] offset:240
	s_waitcnt vmcnt(1) lgkmcnt(3)
	v_mul_f64 v[80:81], v[138:139], v[70:71]
	s_delay_alu instid0(VALU_DEP_1) | instskip(SKIP_1) | instid1(VALU_DEP_1)
	v_fma_f64 v[48:49], v[46:47], v[68:69], v[80:81]
	v_mul_f64 v[46:47], v[46:47], v[70:71]
	v_fma_f64 v[46:47], v[138:139], v[68:69], -v[46:47]
	v_mul_f64 v[68:69], v[136:137], v[74:75]
	s_delay_alu instid0(VALU_DEP_1) | instskip(SKIP_3) | instid1(VALU_DEP_2)
	v_fma_f64 v[148:149], v[44:45], v[72:73], v[68:69]
	v_mul_f64 v[44:45], v[44:45], v[74:75]
	s_waitcnt vmcnt(0) lgkmcnt(2)
	v_mul_f64 v[68:69], v[126:127], v[78:79]
	v_fma_f64 v[60:61], v[136:137], v[72:73], -v[44:45]
	s_delay_alu instid0(VALU_DEP_2) | instskip(SKIP_4) | instid1(VALU_DEP_1)
	v_fma_f64 v[144:145], v[34:35], v[76:77], v[68:69]
	s_clause 0x1
	global_load_b128 v[68:71], v99, s[8:9] offset:224
	global_load_b128 v[72:75], v99, s[8:9] offset:240
	v_mul_f64 v[34:35], v[34:35], v[78:79]
	v_fma_f64 v[44:45], v[126:127], v[76:77], -v[34:35]
	v_add_nc_u32_e32 v34, 34, v252
	s_clause 0x1
	scratch_store_b32 off, v252, off offset:624
	scratch_store_b32 off, v34, off offset:632
	s_waitcnt vmcnt(1)
	v_mul_f64 v[76:77], v[124:125], v[70:71]
	s_delay_alu instid0(VALU_DEP_1) | instskip(SKIP_1) | instid1(VALU_DEP_1)
	v_fma_f64 v[142:143], v[32:33], v[68:69], v[76:77]
	v_mul_f64 v[32:33], v[32:33], v[70:71]
	v_fma_f64 v[58:59], v[124:125], v[68:69], -v[32:33]
	v_and_b32_e32 v32, 0xff, v34
	s_delay_alu instid0(VALU_DEP_1) | instskip(NEXT) | instid1(VALU_DEP_1)
	v_mul_lo_u16 v32, v32, 37
	v_lshrrev_b16 v32, 8, v32
	s_delay_alu instid0(VALU_DEP_1) | instskip(NEXT) | instid1(VALU_DEP_1)
	v_sub_nc_u16 v33, v34, v32
	v_lshrrev_b16 v33, 1, v33
	s_delay_alu instid0(VALU_DEP_1) | instskip(NEXT) | instid1(VALU_DEP_1)
	v_and_b32_e32 v33, 0x7f, v33
	v_add_nc_u16 v32, v33, v32
	s_delay_alu instid0(VALU_DEP_1) | instskip(NEXT) | instid1(VALU_DEP_1)
	v_lshrrev_b16 v32, 2, v32
	v_mul_lo_u16 v32, v32, 7
	s_delay_alu instid0(VALU_DEP_1) | instskip(NEXT) | instid1(VALU_DEP_1)
	v_sub_nc_u16 v32, v34, v32
	v_and_b32_e32 v230, 0xff, v32
	s_delay_alu instid0(VALU_DEP_1)
	v_lshlrev_b32_e32 v32, 8, v230
	s_clause 0x1
	global_load_b128 v[68:71], v32, s[8:9]
	global_load_b128 v[76:79], v32, s[8:9] offset:16
	s_waitcnt vmcnt(1)
	v_mul_f64 v[80:81], v[130:131], v[70:71]
	s_delay_alu instid0(VALU_DEP_1)
	v_fma_f64 v[33:34], v[38:39], v[68:69], v[80:81]
	v_mul_f64 v[38:39], v[38:39], v[70:71]
	scratch_store_b64 off, v[33:34], off offset:292 ; 8-byte Folded Spill
	v_fma_f64 v[33:34], v[130:131], v[68:69], -v[38:39]
	s_waitcnt vmcnt(0)
	v_mul_f64 v[38:39], v[132:133], v[78:79]
	scratch_store_b64 off, v[33:34], off offset:300 ; 8-byte Folded Spill
	v_fma_f64 v[33:34], v[40:41], v[76:77], v[38:39]
	v_mul_f64 v[38:39], v[40:41], v[78:79]
	scratch_store_b64 off, v[33:34], off offset:236 ; 8-byte Folded Spill
	v_fma_f64 v[33:34], v[132:133], v[76:77], -v[38:39]
	scratch_store_b64 off, v[33:34], off offset:268 ; 8-byte Folded Spill
	s_clause 0x1
	global_load_b128 v[38:41], v32, s[8:9] offset:32
	global_load_b128 v[68:71], v32, s[8:9] offset:48
	s_waitcnt vmcnt(1)
	v_mul_f64 v[76:77], v[134:135], v[40:41]
	v_mul_f64 v[40:41], v[42:43], v[40:41]
	s_delay_alu instid0(VALU_DEP_2)
	v_fma_f64 v[33:34], v[42:43], v[38:39], v[76:77]
	scratch_store_b64 off, v[33:34], off offset:244 ; 8-byte Folded Spill
	v_fma_f64 v[33:34], v[134:135], v[38:39], -v[40:41]
	s_waitcnt vmcnt(0)
	v_mul_f64 v[38:39], v[120:121], v[70:71]
	scratch_store_b64 off, v[33:34], off offset:252 ; 8-byte Folded Spill
	v_fma_f64 v[33:34], v[28:29], v[68:69], v[38:39]
	v_mul_f64 v[28:29], v[28:29], v[70:71]
	s_delay_alu instid0(VALU_DEP_1)
	v_fma_f64 v[28:29], v[120:121], v[68:69], -v[28:29]
	s_clause 0x1
	scratch_store_b64 off, v[33:34], off offset:220
	scratch_store_b64 off, v[28:29], off offset:228
	s_clause 0x1
	global_load_b128 v[38:41], v32, s[8:9] offset:64
	global_load_b128 v[68:71], v32, s[8:9] offset:80
	s_waitcnt vmcnt(1)
	v_mul_f64 v[28:29], v[122:123], v[40:41]
	s_delay_alu instid0(VALU_DEP_1) | instskip(SKIP_2) | instid1(VALU_DEP_1)
	v_fma_f64 v[28:29], v[30:31], v[38:39], v[28:29]
	scratch_store_b64 off, v[28:29], off offset:196 ; 8-byte Folded Spill
	v_mul_f64 v[28:29], v[30:31], v[40:41]
	v_fma_f64 v[28:29], v[122:123], v[38:39], -v[28:29]
	scratch_store_b64 off, v[28:29], off offset:204 ; 8-byte Folded Spill
	s_waitcnt vmcnt(0)
	v_mul_f64 v[28:29], v[116:117], v[70:71]
	s_delay_alu instid0(VALU_DEP_1) | instskip(SKIP_1) | instid1(VALU_DEP_1)
	v_fma_f64 v[28:29], v[24:25], v[68:69], v[28:29]
	v_mul_f64 v[24:25], v[24:25], v[70:71]
	v_fma_f64 v[24:25], v[116:117], v[68:69], -v[24:25]
	s_clause 0x1
	scratch_store_b64 off, v[28:29], off offset:172
	scratch_store_b64 off, v[24:25], off offset:180
	s_clause 0x1
	global_load_b128 v[28:31], v32, s[8:9] offset:96
	global_load_b128 v[38:41], v32, s[8:9] offset:112
	s_waitcnt vmcnt(1)
	v_mul_f64 v[24:25], v[118:119], v[30:31]
	s_delay_alu instid0(VALU_DEP_1) | instskip(SKIP_2) | instid1(VALU_DEP_1)
	v_fma_f64 v[24:25], v[26:27], v[28:29], v[24:25]
	scratch_store_b64 off, v[24:25], off offset:156 ; 8-byte Folded Spill
	v_mul_f64 v[24:25], v[26:27], v[30:31]
	v_fma_f64 v[24:25], v[118:119], v[28:29], -v[24:25]
	scratch_store_b64 off, v[24:25], off offset:132 ; 8-byte Folded Spill
	s_waitcnt vmcnt(0)
	v_mul_f64 v[24:25], v[112:113], v[40:41]
	s_delay_alu instid0(VALU_DEP_1) | instskip(SKIP_1) | instid1(VALU_DEP_1)
	v_fma_f64 v[24:25], v[20:21], v[38:39], v[24:25]
	v_mul_f64 v[20:21], v[20:21], v[40:41]
	v_fma_f64 v[20:21], v[112:113], v[38:39], -v[20:21]
	scratch_store_b64 off, v[24:25], off offset:140 ; 8-byte Folded Spill
	v_add_f64 v[112:113], v[218:219], -v[54:55]
	scratch_store_b64 off, v[20:21], off offset:124 ; 8-byte Folded Spill
	s_clause 0x1
	global_load_b128 v[24:27], v32, s[8:9] offset:128
	global_load_b128 v[28:31], v32, s[8:9] offset:144
	v_mul_f64 v[116:117], v[112:113], s[34:35]
	s_waitcnt vmcnt(1)
	v_mul_f64 v[20:21], v[114:115], v[26:27]
	s_delay_alu instid0(VALU_DEP_1) | instskip(SKIP_2) | instid1(VALU_DEP_1)
	v_fma_f64 v[20:21], v[22:23], v[24:25], v[20:21]
	scratch_store_b64 off, v[20:21], off offset:148 ; 8-byte Folded Spill
	v_mul_f64 v[20:21], v[22:23], v[26:27]
	v_fma_f64 v[20:21], v[114:115], v[24:25], -v[20:21]
	v_mul_f64 v[114:115], v[112:113], s[24:25]
	scratch_store_b64 off, v[20:21], off offset:116 ; 8-byte Folded Spill
	s_waitcnt vmcnt(0)
	v_mul_f64 v[20:21], v[108:109], v[30:31]
	s_delay_alu instid0(VALU_DEP_1) | instskip(SKIP_1) | instid1(VALU_DEP_1)
	v_fma_f64 v[20:21], v[16:17], v[28:29], v[20:21]
	v_mul_f64 v[16:17], v[16:17], v[30:31]
	v_fma_f64 v[16:17], v[108:109], v[28:29], -v[16:17]
	s_clause 0x1
	scratch_store_b64 off, v[20:21], off offset:164
	scratch_store_b64 off, v[16:17], off offset:108
	s_clause 0x1
	global_load_b128 v[20:23], v32, s[8:9] offset:160
	global_load_b128 v[24:27], v32, s[8:9] offset:176
	s_waitcnt vmcnt(1)
	v_mul_f64 v[16:17], v[110:111], v[22:23]
	s_delay_alu instid0(VALU_DEP_1) | instskip(SKIP_2) | instid1(VALU_DEP_1)
	v_fma_f64 v[16:17], v[18:19], v[20:21], v[16:17]
	scratch_store_b64 off, v[16:17], off offset:188 ; 8-byte Folded Spill
	v_mul_f64 v[16:17], v[18:19], v[22:23]
	v_fma_f64 v[16:17], v[110:111], v[20:21], -v[16:17]
	scratch_store_b64 off, v[16:17], off offset:100 ; 8-byte Folded Spill
	s_waitcnt vmcnt(0)
	v_mul_f64 v[16:17], v[104:105], v[26:27]
	s_delay_alu instid0(VALU_DEP_1) | instskip(SKIP_1) | instid1(VALU_DEP_1)
	v_fma_f64 v[16:17], v[12:13], v[24:25], v[16:17]
	v_mul_f64 v[12:13], v[12:13], v[26:27]
	v_fma_f64 v[12:13], v[104:105], v[24:25], -v[12:13]
	s_clause 0x1
	scratch_store_b64 off, v[16:17], off offset:212
	scratch_store_b64 off, v[12:13], off offset:92
	s_clause 0x1
	global_load_b128 v[16:19], v32, s[8:9] offset:192
	global_load_b128 v[20:23], v32, s[8:9] offset:208
	s_waitcnt vmcnt(1)
	v_mul_f64 v[12:13], v[106:107], v[18:19]
	s_delay_alu instid0(VALU_DEP_1) | instskip(SKIP_2) | instid1(VALU_DEP_1)
	v_fma_f64 v[12:13], v[14:15], v[16:17], v[12:13]
	scratch_store_b64 off, v[12:13], off offset:260 ; 8-byte Folded Spill
	v_mul_f64 v[12:13], v[14:15], v[18:19]
	v_fma_f64 v[12:13], v[106:107], v[16:17], -v[12:13]
	scratch_store_b64 off, v[12:13], off offset:84 ; 8-byte Folded Spill
	s_waitcnt vmcnt(0) lgkmcnt(1)
	v_mul_f64 v[12:13], v[100:101], v[22:23]
	s_delay_alu instid0(VALU_DEP_1) | instskip(SKIP_1) | instid1(VALU_DEP_1)
	v_fma_f64 v[12:13], v[8:9], v[20:21], v[12:13]
	v_mul_f64 v[8:9], v[8:9], v[22:23]
	v_fma_f64 v[8:9], v[100:101], v[20:21], -v[8:9]
	scratch_store_b64 off, v[12:13], off offset:276 ; 8-byte Folded Spill
	v_add_f64 v[20:21], v[224:225], -v[46:47]
	scratch_store_b64 off, v[8:9], off offset:76 ; 8-byte Folded Spill
	s_clause 0x1
	global_load_b128 v[12:15], v32, s[8:9] offset:224
	global_load_b128 v[16:19], v32, s[8:9] offset:240
	v_mul_f64 v[22:23], v[20:21], s[10:11]
	v_mul_f64 v[108:109], v[20:21], s[38:39]
	v_mul_f64 v[66:67], v[20:21], s[48:49]
	scratch_store_b64 off, v[44:45], off offset:16 ; 8-byte Folded Spill
	s_waitcnt vmcnt(1)
	v_mul_f64 v[8:9], v[102:103], v[14:15]
	s_delay_alu instid0(VALU_DEP_1) | instskip(SKIP_2) | instid1(VALU_DEP_1)
	v_fma_f64 v[8:9], v[10:11], v[12:13], v[8:9]
	scratch_store_b64 off, v[8:9], off offset:284 ; 8-byte Folded Spill
	v_mul_f64 v[8:9], v[10:11], v[14:15]
	v_fma_f64 v[8:9], v[102:103], v[12:13], -v[8:9]
	s_waitcnt vmcnt(0) lgkmcnt(0)
	v_mul_f64 v[12:13], v[248:249], v[18:19]
	scratch_store_b64 off, v[8:9], off offset:68 ; 8-byte Folded Spill
	v_mul_f64 v[8:9], v[246:247], v[74:75]
	s_delay_alu instid0(VALU_DEP_1) | instskip(SKIP_2) | instid1(VALU_DEP_2)
	v_fma_f64 v[162:163], v[242:243], v[72:73], v[8:9]
	v_mul_f64 v[8:9], v[242:243], v[74:75]
	v_add_f64 v[242:243], v[216:217], -v[62:63]
	v_fma_f64 v[10:11], v[246:247], v[72:73], -v[8:9]
	v_fma_f64 v[8:9], v[250:251], v[16:17], v[12:13]
	v_mul_f64 v[12:13], v[250:251], v[18:19]
	s_delay_alu instid0(VALU_DEP_4)
	v_mul_f64 v[88:89], v[242:243], s[38:39]
	v_mul_f64 v[246:247], v[242:243], s[44:45]
	v_add_f64 v[250:251], v[253:254], -v[64:65]
	scratch_store_b64 off, v[8:9], off offset:308 ; 8-byte Folded Spill
	v_fma_f64 v[8:9], v[248:249], v[16:17], -v[12:13]
	v_mul_f64 v[12:13], v[6:7], v[206:207]
	scratch_store_b64 off, v[8:9], off offset:60 ; 8-byte Folded Spill
	v_fma_f64 v[12:13], v[2:3], v[204:205], -v[12:13]
	v_mul_f64 v[2:3], v[2:3], v[206:207]
	s_clause 0x3
	scratch_store_b64 off, v[46:47], off offset:32
	scratch_store_b64 off, v[224:225], off offset:576
	;; [unrolled: 1-line block ×4, first 2 shown]
	v_dual_mov_b32 v225, v37 :: v_dual_mov_b32 v224, v36
	s_clause 0x3
	scratch_store_b64 off, v[54:55], off offset:48
	scratch_store_b64 off, v[218:219], off offset:560
	;; [unrolled: 1-line block ×4, first 2 shown]
	v_dual_mov_b32 v216, v226 :: v_dual_mov_b32 v217, v227
	v_add_f64 v[118:119], v[224:225], v[152:153]
	s_clause 0x3
	scratch_store_b64 off, v[94:95], off offset:472
	scratch_store_b64 off, v[82:83], off offset:488
	;; [unrolled: 1-line block ×4, first 2 shown]
	s_clause 0x1
	scratch_load_b32 v8, off, off offset:316
	scratch_load_b32 v36, off, off
	v_dual_mov_b32 v207, v65 :: v_dual_mov_b32 v206, v64
	v_lshlrev_b32_e32 v9, 3, v245
	s_waitcnt vmcnt(0)
	s_waitcnt_vscnt null, 0x0
	s_barrier
	buffer_gl0_inv
	v_dual_mov_b32 v218, v228 :: v_dual_mov_b32 v219, v229
	s_clause 0x2
	scratch_store_b64 off, v[174:175], off offset:520
	scratch_store_b64 off, v[168:169], off offset:528
	scratch_store_b64 off, v[214:215], off offset:536
	v_add_f64 v[14:15], v[12:13], -v[44:45]
	v_fma_f64 v[2:3], v[6:7], v[204:205], v[2:3]
	v_dual_mov_b32 v204, v253 :: v_dual_mov_b32 v205, v254
	v_mul_f64 v[252:253], v[250:251], s[34:35]
	v_mul_f64 v[254:255], v[250:251], s[46:47]
	;; [unrolled: 1-line block ×3, first 2 shown]
	v_add_f64 v[6:7], v[2:3], v[144:145]
	s_delay_alu instid0(VALU_DEP_1) | instskip(NEXT) | instid1(VALU_DEP_1)
	v_fma_f64 v[18:19], v[6:7], s[12:13], v[16:17]
	v_add_f64 v[24:25], v[240:241], v[18:19]
	v_add_f64 v[18:19], v[226:227], v[48:49]
	v_dual_mov_b32 v227, v97 :: v_dual_mov_b32 v226, v96
	s_delay_alu instid0(VALU_DEP_1) | instskip(NEXT) | instid1(VALU_DEP_3)
	v_add_f64 v[248:249], v[226:227], v[156:157]
	v_fma_f64 v[26:27], v[18:19], s[14:15], v[22:23]
	v_fma_f64 v[120:121], v[18:19], s[42:43], v[108:109]
	;; [unrolled: 1-line block ×3, first 2 shown]
	s_delay_alu instid0(VALU_DEP_3) | instskip(SKIP_1) | instid1(VALU_DEP_1)
	v_add_f64 v[40:41], v[26:27], v[24:25]
	v_mul_f64 v[24:25], v[14:15], s[16:17]
	v_fma_f64 v[26:27], v[6:7], s[20:21], v[24:25]
	s_delay_alu instid0(VALU_DEP_1) | instskip(SKIP_2) | instid1(VALU_DEP_1)
	v_add_f64 v[28:29], v[240:241], v[26:27]
	v_mul_f64 v[26:27], v[20:21], s[18:19]
	v_and_b32_e32 v8, 0xffff, v8
	v_mad_u32_u24 v8, 0x3b8, v8, 0
	s_delay_alu instid0(VALU_DEP_1) | instskip(NEXT) | instid1(VALU_DEP_4)
	v_add3_u32 v122, v8, v9, v36
	v_fma_f64 v[30:31], v[18:19], s[22:23], v[26:27]
	s_delay_alu instid0(VALU_DEP_1)
	v_add_f64 v[42:43], v[30:31], v[28:29]
	v_add_f64 v[30:31], v[220:221], -v[50:51]
	v_add_f64 v[28:29], v[228:229], v[52:53]
	v_dual_mov_b32 v220, v231 :: v_dual_mov_b32 v221, v232
	v_dual_mov_b32 v232, v49 :: v_dual_mov_b32 v231, v48
	;; [unrolled: 1-line block ×3, first 2 shown]
	v_mul_f64 v[38:39], v[30:31], s[18:19]
	s_delay_alu instid0(VALU_DEP_1) | instskip(NEXT) | instid1(VALU_DEP_1)
	v_fma_f64 v[68:69], v[28:29], s[22:23], v[38:39]
	v_add_f64 v[68:69], v[68:69], v[40:41]
	v_mul_f64 v[40:41], v[30:31], s[26:27]
	s_delay_alu instid0(VALU_DEP_1) | instskip(NEXT) | instid1(VALU_DEP_1)
	v_fma_f64 v[70:71], v[28:29], s[28:29], v[40:41]
	v_add_f64 v[70:71], v[70:71], v[42:43]
	v_add_f64 v[42:43], v[220:221], v[222:223]
	s_delay_alu instid0(VALU_DEP_1) | instskip(NEXT) | instid1(VALU_DEP_1)
	v_fma_f64 v[72:73], v[42:43], s[28:29], v[114:115]
	v_add_f64 v[68:69], v[72:73], v[68:69]
	v_fma_f64 v[72:73], v[42:43], s[40:41], v[116:117]
	s_delay_alu instid0(VALU_DEP_1) | instskip(SKIP_1) | instid1(VALU_DEP_1)
	v_add_f64 v[70:71], v[72:73], v[70:71]
	v_fma_f64 v[72:73], v[118:119], s[42:43], v[88:89]
	v_add_f64 v[68:69], v[72:73], v[68:69]
	v_fma_f64 v[72:73], v[118:119], s[12:13], v[246:247]
	s_delay_alu instid0(VALU_DEP_1) | instskip(SKIP_1) | instid1(VALU_DEP_1)
	v_add_f64 v[70:71], v[72:73], v[70:71]
	v_fma_f64 v[72:73], v[248:249], s[40:41], v[252:253]
	v_add_f64 v[74:75], v[72:73], v[68:69]
	v_fma_f64 v[68:69], v[248:249], s[50:51], v[254:255]
	s_delay_alu instid0(VALU_DEP_1) | instskip(SKIP_2) | instid1(VALU_DEP_2)
	v_add_f64 v[76:77], v[68:69], v[70:71]
	v_add_f64 v[70:71], v[94:95], -v[82:83]
	v_add_f64 v[68:69], v[174:175], v[214:215]
	v_mul_f64 v[72:73], v[70:71], s[48:49]
	s_delay_alu instid0(VALU_DEP_1) | instskip(NEXT) | instid1(VALU_DEP_1)
	v_fma_f64 v[78:79], v[68:69], s[20:21], v[72:73]
	v_add_f64 v[82:83], v[78:79], v[74:75]
	v_mul_f64 v[74:75], v[70:71], s[10:11]
	s_delay_alu instid0(VALU_DEP_1) | instskip(NEXT) | instid1(VALU_DEP_1)
	v_fma_f64 v[78:79], v[68:69], s[14:15], v[74:75]
	v_add_f64 v[86:87], v[78:79], v[76:77]
	v_add_f64 v[78:79], v[90:91], -v[92:93]
	v_add_f64 v[76:77], v[178:179], v[168:169]
	s_delay_alu instid0(VALU_DEP_2) | instskip(NEXT) | instid1(VALU_DEP_1)
	v_mul_f64 v[80:81], v[78:79], s[52:53]
	v_fma_f64 v[84:85], v[76:77], s[50:51], v[80:81]
	s_delay_alu instid0(VALU_DEP_1) | instskip(SKIP_1) | instid1(VALU_DEP_1)
	v_add_f64 v[84:85], v[84:85], v[82:83]
	v_mul_f64 v[82:83], v[78:79], s[36:37]
	v_fma_f64 v[90:91], v[76:77], s[42:43], v[82:83]
	s_delay_alu instid0(VALU_DEP_1) | instskip(SKIP_4) | instid1(VALU_DEP_2)
	v_add_f64 v[86:87], v[90:91], v[86:87]
	v_mul_f64 v[90:91], v[20:21], s[24:25]
	ds_store_2addr_b64 v122, v[84:85], v[86:87] offset0:14 offset1:21
	v_mul_f64 v[84:85], v[14:15], s[10:11]
	v_fma_f64 v[92:93], v[18:19], s[28:29], v[90:91]
	v_fma_f64 v[86:87], v[6:7], s[14:15], v[84:85]
	s_delay_alu instid0(VALU_DEP_1) | instskip(NEXT) | instid1(VALU_DEP_1)
	v_add_f64 v[86:87], v[240:241], v[86:87]
	v_add_f64 v[86:87], v[92:93], v[86:87]
	v_mul_f64 v[92:93], v[14:15], s[30:31]
	s_delay_alu instid0(VALU_DEP_1) | instskip(NEXT) | instid1(VALU_DEP_1)
	v_fma_f64 v[94:95], v[6:7], s[40:41], v[92:93]
	v_add_f64 v[94:95], v[240:241], v[94:95]
	s_delay_alu instid0(VALU_DEP_1) | instskip(SKIP_1) | instid1(VALU_DEP_1)
	v_add_f64 v[94:95], v[120:121], v[94:95]
	v_mul_f64 v[120:121], v[30:31], s[34:35]
	v_fma_f64 v[110:111], v[28:29], s[40:41], v[120:121]
	s_delay_alu instid0(VALU_DEP_1) | instskip(SKIP_1) | instid1(VALU_DEP_1)
	v_add_f64 v[86:87], v[110:111], v[86:87]
	v_mul_f64 v[110:111], v[30:31], s[44:45]
	v_fma_f64 v[125:126], v[28:29], s[12:13], v[110:111]
	;; [unrolled: 4-line block ×12, first 2 shown]
	s_delay_alu instid0(VALU_DEP_1) | instskip(SKIP_4) | instid1(VALU_DEP_2)
	v_add_f64 v[94:95], v[101:102], v[94:95]
	v_mul_f64 v[101:102], v[20:21], s[34:35]
	ds_store_2addr_b64 v122, v[86:87], v[94:95] offset0:28 offset1:35
	v_mul_f64 v[86:87], v[14:15], s[18:19]
	v_fma_f64 v[123:124], v[18:19], s[40:41], v[101:102]
	v_fma_f64 v[94:95], v[6:7], s[22:23], v[86:87]
	s_delay_alu instid0(VALU_DEP_1) | instskip(NEXT) | instid1(VALU_DEP_1)
	v_add_f64 v[94:95], v[240:241], v[94:95]
	v_add_f64 v[94:95], v[123:124], v[94:95]
	v_mul_f64 v[123:124], v[14:15], s[36:37]
	s_delay_alu instid0(VALU_DEP_1) | instskip(NEXT) | instid1(VALU_DEP_1)
	v_fma_f64 v[8:9], v[6:7], s[42:43], v[123:124]
	v_add_f64 v[8:9], v[240:241], v[8:9]
	s_delay_alu instid0(VALU_DEP_1) | instskip(SKIP_1) | instid1(VALU_DEP_1)
	v_add_f64 v[8:9], v[34:35], v[8:9]
	v_mul_f64 v[34:35], v[30:31], s[46:47]
	v_fma_f64 v[160:161], v[28:29], s[50:51], v[34:35]
	v_fma_f64 v[34:35], v[28:29], s[50:51], -v[34:35]
	s_delay_alu instid0(VALU_DEP_2) | instskip(SKIP_1) | instid1(VALU_DEP_1)
	v_add_f64 v[94:95], v[160:161], v[94:95]
	v_mul_f64 v[160:161], v[30:31], s[10:11]
	v_fma_f64 v[64:65], v[28:29], s[14:15], v[160:161]
	s_delay_alu instid0(VALU_DEP_1) | instskip(SKIP_1) | instid1(VALU_DEP_1)
	v_add_f64 v[8:9], v[64:65], v[8:9]
	v_mul_f64 v[64:65], v[112:113], s[36:37]
	v_fma_f64 v[32:33], v[42:43], s[42:43], v[64:65]
	s_delay_alu instid0(VALU_DEP_1) | instskip(SKIP_1) | instid1(VALU_DEP_1)
	;; [unrolled: 4-line block ×10, first 2 shown]
	v_add_f64 v[32:33], v[56:57], v[32:33]
	v_mul_f64 v[56:57], v[78:79], s[30:31]
	v_fma_f64 v[54:55], v[76:77], s[40:41], v[56:57]
	s_delay_alu instid0(VALU_DEP_1)
	v_add_f64 v[8:9], v[54:55], v[8:9]
	v_mul_f64 v[54:55], v[20:21], s[52:53]
	ds_store_2addr_b64 v122, v[32:33], v[8:9] offset0:42 offset1:49
	v_mul_f64 v[8:9], v[14:15], s[24:25]
	v_fma_f64 v[170:171], v[18:19], s[50:51], v[54:55]
	v_fma_f64 v[54:55], v[18:19], s[50:51], -v[54:55]
	s_delay_alu instid0(VALU_DEP_3) | instskip(SKIP_1) | instid1(VALU_DEP_2)
	v_fma_f64 v[32:33], v[6:7], s[28:29], v[8:9]
	v_fma_f64 v[8:9], v[6:7], s[28:29], -v[8:9]
	v_add_f64 v[32:33], v[240:241], v[32:33]
	s_delay_alu instid0(VALU_DEP_2) | instskip(NEXT) | instid1(VALU_DEP_2)
	v_add_f64 v[8:9], v[240:241], v[8:9]
	v_add_f64 v[32:33], v[170:171], v[32:33]
	s_delay_alu instid0(VALU_DEP_2) | instskip(SKIP_1) | instid1(VALU_DEP_1)
	v_add_f64 v[8:9], v[54:55], v[8:9]
	v_mul_f64 v[54:55], v[30:31], s[36:37]
	v_fma_f64 v[170:171], v[28:29], s[42:43], v[54:55]
	v_fma_f64 v[54:55], v[28:29], s[42:43], -v[54:55]
	s_delay_alu instid0(VALU_DEP_2) | instskip(NEXT) | instid1(VALU_DEP_2)
	v_add_f64 v[32:33], v[170:171], v[32:33]
	v_add_f64 v[8:9], v[54:55], v[8:9]
	v_mul_f64 v[54:55], v[112:113], s[44:45]
	s_delay_alu instid0(VALU_DEP_1) | instskip(SKIP_1) | instid1(VALU_DEP_2)
	v_fma_f64 v[170:171], v[42:43], s[12:13], v[54:55]
	v_fma_f64 v[54:55], v[42:43], s[12:13], -v[54:55]
	v_add_f64 v[32:33], v[170:171], v[32:33]
	s_delay_alu instid0(VALU_DEP_2) | instskip(SKIP_1) | instid1(VALU_DEP_1)
	v_add_f64 v[8:9], v[54:55], v[8:9]
	v_mul_f64 v[54:55], v[242:243], s[18:19]
	v_fma_f64 v[170:171], v[118:119], s[22:23], v[54:55]
	v_fma_f64 v[54:55], v[118:119], s[22:23], -v[54:55]
	s_delay_alu instid0(VALU_DEP_2) | instskip(NEXT) | instid1(VALU_DEP_2)
	v_add_f64 v[32:33], v[170:171], v[32:33]
	v_add_f64 v[8:9], v[54:55], v[8:9]
	v_mul_f64 v[54:55], v[250:251], s[48:49]
	s_delay_alu instid0(VALU_DEP_1) | instskip(SKIP_1) | instid1(VALU_DEP_2)
	v_fma_f64 v[170:171], v[248:249], s[20:21], v[54:55]
	v_fma_f64 v[54:55], v[248:249], s[20:21], -v[54:55]
	;; [unrolled: 13-line block ×3, first 2 shown]
	v_add_f64 v[32:33], v[170:171], v[32:33]
	s_delay_alu instid0(VALU_DEP_2) | instskip(SKIP_4) | instid1(VALU_DEP_2)
	v_add_f64 v[8:9], v[54:55], v[8:9]
	v_fma_f64 v[54:55], v[18:19], s[20:21], -v[66:67]
	ds_store_2addr_b64 v122, v[32:33], v[8:9] offset0:56 offset1:63
	v_fma_f64 v[8:9], v[6:7], s[22:23], -v[86:87]
	v_fma_f64 v[32:33], v[18:19], s[40:41], -v[101:102]
	v_add_f64 v[8:9], v[240:241], v[8:9]
	s_delay_alu instid0(VALU_DEP_1) | instskip(SKIP_1) | instid1(VALU_DEP_2)
	v_add_f64 v[8:9], v[32:33], v[8:9]
	v_fma_f64 v[32:33], v[6:7], s[42:43], -v[123:124]
	v_add_f64 v[8:9], v[34:35], v[8:9]
	s_delay_alu instid0(VALU_DEP_2) | instskip(SKIP_1) | instid1(VALU_DEP_2)
	v_add_f64 v[32:33], v[240:241], v[32:33]
	v_fma_f64 v[34:35], v[28:29], s[14:15], -v[160:161]
	v_add_f64 v[32:33], v[54:55], v[32:33]
	s_delay_alu instid0(VALU_DEP_1) | instskip(SKIP_1) | instid1(VALU_DEP_1)
	v_add_f64 v[32:33], v[34:35], v[32:33]
	v_fma_f64 v[34:35], v[42:43], s[42:43], -v[64:65]
	v_add_f64 v[8:9], v[34:35], v[8:9]
	v_fma_f64 v[34:35], v[42:43], s[22:23], -v[94:95]
	s_delay_alu instid0(VALU_DEP_1) | instskip(SKIP_1) | instid1(VALU_DEP_1)
	v_add_f64 v[32:33], v[34:35], v[32:33]
	v_fma_f64 v[34:35], v[118:119], s[14:15], -v[44:45]
	v_add_f64 v[8:9], v[34:35], v[8:9]
	v_fma_f64 v[34:35], v[118:119], s[50:51], -v[166:167]
	;; [unrolled: 5-line block ×5, first 2 shown]
	s_delay_alu instid0(VALU_DEP_1) | instskip(SKIP_4) | instid1(VALU_DEP_2)
	v_add_f64 v[32:33], v[34:35], v[32:33]
	v_fma_f64 v[34:35], v[18:19], s[42:43], -v[108:109]
	ds_store_2addr_b64 v122, v[32:33], v[8:9] offset0:70 offset1:77
	v_fma_f64 v[8:9], v[6:7], s[14:15], -v[84:85]
	v_fma_f64 v[32:33], v[18:19], s[28:29], -v[90:91]
	v_add_f64 v[8:9], v[240:241], v[8:9]
	s_delay_alu instid0(VALU_DEP_1) | instskip(SKIP_1) | instid1(VALU_DEP_1)
	v_add_f64 v[8:9], v[32:33], v[8:9]
	v_fma_f64 v[32:33], v[6:7], s[40:41], -v[92:93]
	v_add_f64 v[32:33], v[240:241], v[32:33]
	s_delay_alu instid0(VALU_DEP_1) | instskip(SKIP_1) | instid1(VALU_DEP_1)
	v_add_f64 v[32:33], v[34:35], v[32:33]
	v_fma_f64 v[34:35], v[28:29], s[40:41], -v[120:121]
	v_add_f64 v[8:9], v[34:35], v[8:9]
	v_fma_f64 v[34:35], v[28:29], s[12:13], -v[110:111]
	s_delay_alu instid0(VALU_DEP_1) | instskip(SKIP_1) | instid1(VALU_DEP_1)
	v_add_f64 v[32:33], v[34:35], v[32:33]
	v_fma_f64 v[34:35], v[42:43], s[50:51], -v[125:126]
	v_add_f64 v[8:9], v[34:35], v[8:9]
	v_fma_f64 v[34:35], v[42:43], s[20:21], -v[130:131]
	;; [unrolled: 5-line block ×6, first 2 shown]
	s_delay_alu instid0(VALU_DEP_1) | instskip(SKIP_4) | instid1(VALU_DEP_3)
	v_add_f64 v[32:33], v[34:35], v[32:33]
	ds_store_2addr_b64 v122, v[32:33], v[8:9] offset0:84 offset1:91
	v_fma_f64 v[8:9], v[6:7], s[12:13], -v[16:17]
	v_fma_f64 v[16:17], v[18:19], s[14:15], -v[22:23]
	;; [unrolled: 1-line block ×3, first 2 shown]
	v_add_f64 v[8:9], v[240:241], v[8:9]
	s_delay_alu instid0(VALU_DEP_1) | instskip(SKIP_1) | instid1(VALU_DEP_1)
	v_add_f64 v[8:9], v[16:17], v[8:9]
	v_fma_f64 v[16:17], v[6:7], s[20:21], -v[24:25]
	v_add_f64 v[16:17], v[240:241], v[16:17]
	s_delay_alu instid0(VALU_DEP_1) | instskip(SKIP_1) | instid1(VALU_DEP_1)
	v_add_f64 v[16:17], v[22:23], v[16:17]
	v_fma_f64 v[22:23], v[28:29], s[22:23], -v[38:39]
	v_add_f64 v[8:9], v[22:23], v[8:9]
	v_fma_f64 v[22:23], v[28:29], s[28:29], -v[40:41]
	s_delay_alu instid0(VALU_DEP_1) | instskip(SKIP_1) | instid1(VALU_DEP_1)
	v_add_f64 v[16:17], v[22:23], v[16:17]
	v_fma_f64 v[22:23], v[42:43], s[28:29], -v[114:115]
	v_add_f64 v[8:9], v[22:23], v[8:9]
	v_fma_f64 v[22:23], v[42:43], s[40:41], -v[116:117]
	;; [unrolled: 5-line block ×5, first 2 shown]
	v_add_f64 v[74:75], v[176:177], -v[128:129]
	s_delay_alu instid0(VALU_DEP_2) | instskip(SKIP_1) | instid1(VALU_DEP_1)
	v_add_f64 v[16:17], v[22:23], v[16:17]
	v_fma_f64 v[22:23], v[76:77], s[50:51], -v[80:81]
	v_add_f64 v[8:9], v[22:23], v[8:9]
	v_fma_f64 v[22:23], v[76:77], s[42:43], -v[82:83]
	s_delay_alu instid0(VALU_DEP_1) | instskip(SKIP_3) | instid1(VALU_DEP_2)
	v_add_f64 v[16:17], v[22:23], v[16:17]
	ds_store_2addr_b64 v122, v[16:17], v[8:9] offset0:98 offset1:105
	v_mul_f64 v[8:9], v[14:15], s[46:47]
	v_mul_f64 v[14:15], v[20:21], s[4:5]
	v_fma_f64 v[16:17], v[6:7], s[50:51], v[8:9]
	s_delay_alu instid0(VALU_DEP_2) | instskip(SKIP_2) | instid1(VALU_DEP_4)
	v_fma_f64 v[20:21], v[18:19], s[12:13], v[14:15]
	v_fma_f64 v[6:7], v[6:7], s[50:51], -v[8:9]
	v_fma_f64 v[8:9], v[18:19], s[12:13], -v[14:15]
	v_add_f64 v[16:17], v[240:241], v[16:17]
	s_delay_alu instid0(VALU_DEP_3) | instskip(NEXT) | instid1(VALU_DEP_2)
	v_add_f64 v[6:7], v[240:241], v[6:7]
	v_add_f64 v[16:17], v[20:21], v[16:17]
	v_mul_f64 v[20:21], v[30:31], s[16:17]
	s_delay_alu instid0(VALU_DEP_3) | instskip(NEXT) | instid1(VALU_DEP_2)
	v_add_f64 v[8:9], v[8:9], v[6:7]
	v_fma_f64 v[22:23], v[28:29], s[20:21], v[20:21]
	v_fma_f64 v[14:15], v[28:29], s[20:21], -v[20:21]
	s_delay_alu instid0(VALU_DEP_2) | instskip(SKIP_1) | instid1(VALU_DEP_3)
	v_add_f64 v[16:17], v[22:23], v[16:17]
	v_mul_f64 v[22:23], v[112:113], s[10:11]
	v_add_f64 v[8:9], v[14:15], v[8:9]
	v_add_f64 v[14:15], v[202:203], v[148:149]
	s_delay_alu instid0(VALU_DEP_3) | instskip(NEXT) | instid1(VALU_DEP_1)
	v_fma_f64 v[24:25], v[42:43], s[14:15], v[22:23]
	v_add_f64 v[16:17], v[24:25], v[16:17]
	v_mul_f64 v[24:25], v[242:243], s[30:31]
	s_delay_alu instid0(VALU_DEP_1) | instskip(SKIP_3) | instid1(VALU_DEP_4)
	v_fma_f64 v[26:27], v[118:119], s[40:41], v[24:25]
	v_fma_f64 v[18:19], v[118:119], s[40:41], -v[24:25]
	v_add_f64 v[24:25], v[212:213], -v[58:59]
	v_mul_f64 v[118:119], v[74:75], s[52:53]
	v_add_f64 v[16:17], v[26:27], v[16:17]
	v_mul_f64 v[26:27], v[250:251], s[18:19]
	s_delay_alu instid0(VALU_DEP_4) | instskip(SKIP_2) | instid1(VALU_DEP_4)
	v_mul_f64 v[80:81], v[24:25], s[18:19]
	v_mul_f64 v[46:47], v[24:25], s[38:39]
	;; [unrolled: 1-line block ×3, first 2 shown]
	v_fma_f64 v[30:31], v[248:249], s[22:23], v[26:27]
	v_fma_f64 v[20:21], v[248:249], s[22:23], -v[26:27]
	s_delay_alu instid0(VALU_DEP_2) | instskip(SKIP_2) | instid1(VALU_DEP_2)
	v_add_f64 v[16:17], v[30:31], v[16:17]
	v_mul_f64 v[30:31], v[70:71], s[36:37]
	v_add_f64 v[70:71], v[186:187], -v[154:155]
	v_fma_f64 v[32:33], v[68:69], s[42:43], v[30:31]
	v_fma_f64 v[28:29], v[68:69], s[42:43], -v[30:31]
	v_add_f64 v[68:69], v[190:191], -v[184:185]
	s_delay_alu instid0(VALU_DEP_4)
	v_mul_f64 v[114:115], v[70:71], s[48:49]
	v_mul_f64 v[116:117], v[70:71], s[10:11]
	v_add_f64 v[16:17], v[32:33], v[16:17]
	v_mul_f64 v[32:33], v[78:79], s[24:25]
	v_mul_f64 v[78:79], v[24:25], s[10:11]
	;; [unrolled: 1-line block ×4, first 2 shown]
	s_delay_alu instid0(VALU_DEP_4) | instskip(SKIP_1) | instid1(VALU_DEP_2)
	v_fma_f64 v[34:35], v[76:77], s[28:29], v[32:33]
	v_fma_f64 v[32:33], v[76:77], s[28:29], -v[32:33]
	v_add_f64 v[16:17], v[34:35], v[16:17]
	v_add_f64 v[34:35], v[240:241], v[2:3]
	v_mul_f64 v[240:241], v[74:75], s[36:37]
	s_delay_alu instid0(VALU_DEP_2) | instskip(NEXT) | instid1(VALU_DEP_1)
	v_add_f64 v[34:35], v[34:35], v[216:217]
	v_add_f64 v[34:35], v[34:35], v[218:219]
	s_delay_alu instid0(VALU_DEP_1) | instskip(NEXT) | instid1(VALU_DEP_1)
	v_add_f64 v[34:35], v[34:35], v[220:221]
	v_add_f64 v[34:35], v[34:35], v[224:225]
	s_delay_alu instid0(VALU_DEP_1) | instskip(NEXT) | instid1(VALU_DEP_1)
	v_add_f64 v[34:35], v[34:35], v[226:227]
	v_add_f64 v[34:35], v[34:35], v[174:175]
	v_dual_mov_b32 v174, v178 :: v_dual_mov_b32 v175, v179
	scratch_load_b64 v[178:179], off, off offset:592 ; 8-byte Folded Reload
	v_add_f64 v[34:35], v[34:35], v[174:175]
	s_delay_alu instid0(VALU_DEP_1) | instskip(SKIP_1) | instid1(VALU_DEP_2)
	v_add_f64 v[34:35], v[34:35], v[168:169]
	v_dual_mov_b32 v169, v11 :: v_dual_mov_b32 v168, v10
	v_add_f64 v[34:35], v[34:35], v[214:215]
	v_dual_mov_b32 v214, v222 :: v_dual_mov_b32 v215, v223
	scratch_load_b64 v[222:223], off, off offset:584 ; 8-byte Folded Reload
	v_add_f64 v[34:35], v[34:35], v[156:157]
	s_delay_alu instid0(VALU_DEP_1) | instskip(SKIP_3) | instid1(VALU_DEP_3)
	v_add_f64 v[34:35], v[34:35], v[152:153]
	s_waitcnt vmcnt(1)
	v_add_f64 v[26:27], v[178:179], -v[10:11]
	v_dual_mov_b32 v10, v162 :: v_dual_mov_b32 v11, v163
	v_add_f64 v[34:35], v[34:35], v[214:215]
	s_delay_alu instid0(VALU_DEP_3) | instskip(SKIP_1) | instid1(VALU_DEP_3)
	v_mul_f64 v[72:73], v[26:27], s[4:5]
	v_mul_f64 v[76:77], v[26:27], s[16:17]
	v_add_f64 v[34:35], v[34:35], v[228:229]
	s_delay_alu instid0(VALU_DEP_1) | instskip(NEXT) | instid1(VALU_DEP_1)
	v_add_f64 v[34:35], v[34:35], v[231:232]
	v_add_f64 v[34:35], v[34:35], v[144:145]
	ds_store_2addr_b64 v122, v[34:35], v[16:17] offset1:7
	v_fma_f64 v[16:17], v[42:43], s[14:15], -v[22:23]
	s_waitcnt vmcnt(0)
	v_add_f64 v[22:23], v[222:223], v[10:11]
	s_clause 0x5
	scratch_store_b64 off, v[58:59], off offset:356
	scratch_store_b64 off, v[212:213], off offset:504
	;; [unrolled: 1-line block ×6, first 2 shown]
	v_add_f64 v[8:9], v[16:17], v[8:9]
	v_fma_f64 v[6:7], v[22:23], s[12:13], v[72:73]
	s_delay_alu instid0(VALU_DEP_2) | instskip(NEXT) | instid1(VALU_DEP_2)
	v_add_f64 v[8:9], v[18:19], v[8:9]
	v_add_f64 v[30:31], v[4:5], v[6:7]
	v_add_f64 v[6:7], v[210:211], v[142:143]
	s_delay_alu instid0(VALU_DEP_3) | instskip(SKIP_1) | instid1(VALU_DEP_3)
	v_add_f64 v[8:9], v[20:21], v[8:9]
	v_add_f64 v[20:21], v[180:181], v[188:189]
	v_fma_f64 v[34:35], v[6:7], s[14:15], v[78:79]
	v_fma_f64 v[38:39], v[6:7], s[22:23], v[80:81]
	;; [unrolled: 1-line block ×4, first 2 shown]
	v_add_f64 v[8:9], v[28:29], v[8:9]
	v_add_f64 v[28:29], v[182:183], v[158:159]
	;; [unrolled: 1-line block ×3, first 2 shown]
	v_fma_f64 v[30:31], v[22:23], s[20:21], v[76:77]
	s_delay_alu instid0(VALU_DEP_4) | instskip(NEXT) | instid1(VALU_DEP_2)
	v_add_f64 v[8:9], v[32:33], v[8:9]
	v_add_f64 v[30:31], v[4:5], v[30:31]
	s_delay_alu instid0(VALU_DEP_1) | instskip(SKIP_1) | instid1(VALU_DEP_1)
	v_add_f64 v[38:39], v[38:39], v[30:31]
	v_add_f64 v[30:31], v[208:209], -v[60:61]
	v_mul_f64 v[82:83], v[30:31], s[18:19]
	v_mul_f64 v[84:85], v[30:31], s[26:27]
	s_delay_alu instid0(VALU_DEP_2) | instskip(NEXT) | instid1(VALU_DEP_1)
	v_fma_f64 v[40:41], v[14:15], s[22:23], v[82:83]
	v_add_f64 v[34:35], v[40:41], v[34:35]
	s_delay_alu instid0(VALU_DEP_3) | instskip(NEXT) | instid1(VALU_DEP_1)
	v_fma_f64 v[40:41], v[14:15], s[28:29], v[84:85]
	v_add_f64 v[38:39], v[40:41], v[38:39]
	v_add_f64 v[40:41], v[200:201], -v[146:147]
	s_clause 0x1
	scratch_load_b64 v[200:201], off, off offset:600
	scratch_load_b64 v[162:163], off, off offset:608
	s_clause 0x7
	scratch_store_b64 off, v[150:151], off offset:396
	scratch_store_b64 off, v[194:195], off offset:456
	;; [unrolled: 1-line block ×8, first 2 shown]
	ds_store_b64 v122, v[8:9] offset:896
	v_and_b32_e32 v8, 0xffff, v233
	v_dual_mov_b32 v146, v210 :: v_dual_lshlrev_b32 v9, 3, v98
	v_dual_mov_b32 v147, v211 :: v_dual_mov_b32 v128, v198
	s_delay_alu instid0(VALU_DEP_3)
	v_mad_u32_u24 v8, 0x3b8, v8, 0
	v_mov_b32_e32 v129, v199
	s_clause 0x2
	scratch_store_b64 off, v[180:181], off offset:412
	scratch_store_b64 off, v[164:165], off offset:316
	;; [unrolled: 1-line block ×3, first 2 shown]
	v_add3_u32 v123, v8, v9, v36
	v_mul_f64 v[8:9], v[26:27], s[10:11]
	s_clause 0x1
	scratch_store_b64 off, v[182:183], off offset:372
	scratch_store_b64 off, v[158:159], off offset:380
	v_mul_f64 v[86:87], v[40:41], s[24:25]
	v_mul_f64 v[88:89], v[40:41], s[34:35]
	s_waitcnt vmcnt(1)
	v_add_f64 v[18:19], v[192:193], v[200:201]
	s_waitcnt vmcnt(0)
	v_add_f64 v[16:17], v[198:199], v[162:163]
	v_dual_mov_b32 v199, v193 :: v_dual_mov_b32 v198, v192
	s_delay_alu instid0(VALU_DEP_2) | instskip(NEXT) | instid1(VALU_DEP_1)
	v_fma_f64 v[42:43], v[16:17], s[28:29], v[86:87]
	v_add_f64 v[34:35], v[42:43], v[34:35]
	v_fma_f64 v[42:43], v[16:17], s[40:41], v[88:89]
	s_delay_alu instid0(VALU_DEP_1) | instskip(SKIP_1) | instid1(VALU_DEP_1)
	v_add_f64 v[38:39], v[42:43], v[38:39]
	v_add_f64 v[42:43], v[194:195], -v[150:151]
	v_mul_f64 v[90:91], v[42:43], s[38:39]
	v_mul_f64 v[112:113], v[42:43], s[44:45]
	s_delay_alu instid0(VALU_DEP_2) | instskip(NEXT) | instid1(VALU_DEP_1)
	v_fma_f64 v[44:45], v[18:19], s[42:43], v[90:91]
	v_add_f64 v[34:35], v[44:45], v[34:35]
	s_delay_alu instid0(VALU_DEP_3) | instskip(NEXT) | instid1(VALU_DEP_1)
	v_fma_f64 v[44:45], v[18:19], s[12:13], v[112:113]
	v_add_f64 v[38:39], v[44:45], v[38:39]
	v_fma_f64 v[44:45], v[20:21], s[40:41], v[92:93]
	s_delay_alu instid0(VALU_DEP_1) | instskip(SKIP_1) | instid1(VALU_DEP_1)
	v_add_f64 v[34:35], v[44:45], v[34:35]
	v_fma_f64 v[44:45], v[20:21], s[50:51], v[94:95]
	v_add_f64 v[38:39], v[44:45], v[38:39]
	v_fma_f64 v[44:45], v[28:29], s[20:21], v[114:115]
	s_delay_alu instid0(VALU_DEP_1) | instskip(SKIP_1) | instid1(VALU_DEP_1)
	v_add_f64 v[34:35], v[44:45], v[34:35]
	v_fma_f64 v[44:45], v[28:29], s[14:15], v[116:117]
	v_add_f64 v[44:45], v[44:45], v[38:39]
	v_add_f64 v[38:39], v[164:165], v[172:173]
	s_delay_alu instid0(VALU_DEP_1) | instskip(NEXT) | instid1(VALU_DEP_1)
	v_fma_f64 v[32:33], v[38:39], s[50:51], v[118:119]
	v_add_f64 v[32:33], v[32:33], v[34:35]
	v_fma_f64 v[34:35], v[38:39], s[42:43], v[240:241]
	s_delay_alu instid0(VALU_DEP_1) | instskip(SKIP_4) | instid1(VALU_DEP_3)
	v_add_f64 v[34:35], v[34:35], v[44:45]
	ds_store_2addr_b64 v123, v[32:33], v[34:35] offset0:14 offset1:21
	v_fma_f64 v[32:33], v[22:23], s[14:15], v[8:9]
	v_mul_f64 v[34:35], v[24:25], s[24:25]
	v_fma_f64 v[8:9], v[22:23], s[14:15], -v[8:9]
	v_add_f64 v[32:33], v[4:5], v[32:33]
	s_delay_alu instid0(VALU_DEP_3) | instskip(NEXT) | instid1(VALU_DEP_3)
	v_fma_f64 v[36:37], v[6:7], s[28:29], v[34:35]
	v_add_f64 v[8:9], v[4:5], v[8:9]
	s_delay_alu instid0(VALU_DEP_2) | instskip(SKIP_1) | instid1(VALU_DEP_1)
	v_add_f64 v[32:33], v[36:37], v[32:33]
	v_mul_f64 v[36:37], v[26:27], s[30:31]
	v_fma_f64 v[44:45], v[22:23], s[40:41], v[36:37]
	s_delay_alu instid0(VALU_DEP_1) | instskip(NEXT) | instid1(VALU_DEP_1)
	v_add_f64 v[44:45], v[4:5], v[44:45]
	v_add_f64 v[44:45], v[48:49], v[44:45]
	v_mul_f64 v[48:49], v[30:31], s[34:35]
	s_delay_alu instid0(VALU_DEP_1) | instskip(NEXT) | instid1(VALU_DEP_1)
	v_fma_f64 v[50:51], v[14:15], s[40:41], v[48:49]
	v_add_f64 v[32:33], v[50:51], v[32:33]
	v_mul_f64 v[50:51], v[30:31], s[44:45]
	s_delay_alu instid0(VALU_DEP_1) | instskip(NEXT) | instid1(VALU_DEP_1)
	v_fma_f64 v[52:53], v[14:15], s[12:13], v[50:51]
	;; [unrolled: 4-line block ×12, first 2 shown]
	v_add_f64 v[44:45], v[105:106], v[44:45]
	v_mul_f64 v[105:106], v[24:25], s[34:35]
	ds_store_2addr_b64 v123, v[32:33], v[44:45] offset0:28 offset1:35
	v_mul_f64 v[32:33], v[26:27], s[18:19]
	v_fma_f64 v[107:108], v[6:7], s[40:41], v[105:106]
	s_delay_alu instid0(VALU_DEP_2) | instskip(SKIP_1) | instid1(VALU_DEP_2)
	v_fma_f64 v[44:45], v[22:23], s[22:23], v[32:33]
	v_fma_f64 v[32:33], v[22:23], s[22:23], -v[32:33]
	v_add_f64 v[44:45], v[4:5], v[44:45]
	s_delay_alu instid0(VALU_DEP_2) | instskip(NEXT) | instid1(VALU_DEP_2)
	v_add_f64 v[32:33], v[4:5], v[32:33]
	v_add_f64 v[44:45], v[107:108], v[44:45]
	v_mul_f64 v[107:108], v[26:27], s[36:37]
	s_delay_alu instid0(VALU_DEP_1) | instskip(NEXT) | instid1(VALU_DEP_1)
	v_fma_f64 v[109:110], v[22:23], s[42:43], v[107:108]
	v_add_f64 v[109:110], v[4:5], v[109:110]
	s_delay_alu instid0(VALU_DEP_1) | instskip(SKIP_1) | instid1(VALU_DEP_1)
	v_add_f64 v[109:110], v[124:125], v[109:110]
	v_mul_f64 v[124:125], v[30:31], s[46:47]
	v_fma_f64 v[126:127], v[14:15], s[50:51], v[124:125]
	s_delay_alu instid0(VALU_DEP_1) | instskip(SKIP_1) | instid1(VALU_DEP_1)
	v_add_f64 v[44:45], v[126:127], v[44:45]
	v_mul_f64 v[126:127], v[30:31], s[10:11]
	v_fma_f64 v[130:131], v[14:15], s[14:15], v[126:127]
	;; [unrolled: 4-line block ×12, first 2 shown]
	s_delay_alu instid0(VALU_DEP_1)
	v_add_f64 v[109:110], v[245:246], v[109:110]
	v_mul_f64 v[245:246], v[24:25], s[52:53]
	v_mul_f64 v[24:25], v[24:25], s[4:5]
	ds_store_2addr_b64 v123, v[44:45], v[109:110] offset0:42 offset1:49
	v_mul_f64 v[44:45], v[26:27], s[24:25]
	v_fma_f64 v[247:248], v[6:7], s[50:51], v[245:246]
	v_fma_f64 v[245:246], v[6:7], s[50:51], -v[245:246]
	s_delay_alu instid0(VALU_DEP_3) | instskip(SKIP_1) | instid1(VALU_DEP_2)
	v_fma_f64 v[109:110], v[22:23], s[28:29], v[44:45]
	v_fma_f64 v[44:45], v[22:23], s[28:29], -v[44:45]
	v_add_f64 v[109:110], v[4:5], v[109:110]
	s_delay_alu instid0(VALU_DEP_2) | instskip(NEXT) | instid1(VALU_DEP_2)
	v_add_f64 v[44:45], v[4:5], v[44:45]
	v_add_f64 v[109:110], v[247:248], v[109:110]
	s_delay_alu instid0(VALU_DEP_2) | instskip(SKIP_1) | instid1(VALU_DEP_1)
	v_add_f64 v[44:45], v[245:246], v[44:45]
	v_mul_f64 v[245:246], v[30:31], s[36:37]
	v_fma_f64 v[247:248], v[14:15], s[42:43], v[245:246]
	v_fma_f64 v[245:246], v[14:15], s[42:43], -v[245:246]
	s_delay_alu instid0(VALU_DEP_2) | instskip(NEXT) | instid1(VALU_DEP_2)
	v_add_f64 v[109:110], v[247:248], v[109:110]
	v_add_f64 v[44:45], v[245:246], v[44:45]
	v_mul_f64 v[245:246], v[40:41], s[44:45]
	s_delay_alu instid0(VALU_DEP_1) | instskip(SKIP_1) | instid1(VALU_DEP_2)
	v_fma_f64 v[247:248], v[16:17], s[12:13], v[245:246]
	v_fma_f64 v[245:246], v[16:17], s[12:13], -v[245:246]
	v_add_f64 v[109:110], v[247:248], v[109:110]
	s_delay_alu instid0(VALU_DEP_2) | instskip(SKIP_1) | instid1(VALU_DEP_1)
	v_add_f64 v[44:45], v[245:246], v[44:45]
	v_mul_f64 v[245:246], v[42:43], s[18:19]
	v_fma_f64 v[247:248], v[18:19], s[22:23], v[245:246]
	v_fma_f64 v[245:246], v[18:19], s[22:23], -v[245:246]
	s_delay_alu instid0(VALU_DEP_2) | instskip(NEXT) | instid1(VALU_DEP_2)
	v_add_f64 v[109:110], v[247:248], v[109:110]
	v_add_f64 v[44:45], v[245:246], v[44:45]
	v_mul_f64 v[245:246], v[68:69], s[48:49]
	s_delay_alu instid0(VALU_DEP_1) | instskip(SKIP_1) | instid1(VALU_DEP_2)
	v_fma_f64 v[247:248], v[20:21], s[20:21], v[245:246]
	v_fma_f64 v[245:246], v[20:21], s[20:21], -v[245:246]
	;; [unrolled: 13-line block ×3, first 2 shown]
	v_add_f64 v[109:110], v[247:248], v[109:110]
	s_delay_alu instid0(VALU_DEP_2) | instskip(SKIP_3) | instid1(VALU_DEP_2)
	v_add_f64 v[44:45], v[245:246], v[44:45]
	ds_store_2addr_b64 v123, v[109:110], v[44:45] offset0:56 offset1:63
	v_fma_f64 v[44:45], v[6:7], s[40:41], -v[105:106]
	v_fma_f64 v[105:106], v[6:7], s[20:21], -v[120:121]
	v_add_f64 v[32:33], v[44:45], v[32:33]
	v_fma_f64 v[44:45], v[22:23], s[42:43], -v[107:108]
	s_delay_alu instid0(VALU_DEP_1) | instskip(NEXT) | instid1(VALU_DEP_1)
	v_add_f64 v[44:45], v[4:5], v[44:45]
	v_add_f64 v[44:45], v[105:106], v[44:45]
	v_fma_f64 v[105:106], v[14:15], s[50:51], -v[124:125]
	s_delay_alu instid0(VALU_DEP_1) | instskip(SKIP_1) | instid1(VALU_DEP_1)
	v_add_f64 v[32:33], v[105:106], v[32:33]
	v_fma_f64 v[105:106], v[14:15], s[14:15], -v[126:127]
	v_add_f64 v[44:45], v[105:106], v[44:45]
	v_fma_f64 v[105:106], v[16:17], s[42:43], -v[130:131]
	s_delay_alu instid0(VALU_DEP_1) | instskip(SKIP_1) | instid1(VALU_DEP_1)
	v_add_f64 v[32:33], v[105:106], v[32:33]
	v_fma_f64 v[105:106], v[16:17], s[22:23], -v[132:133]
	;; [unrolled: 5-line block ×6, first 2 shown]
	v_add_f64 v[44:45], v[105:106], v[44:45]
	ds_store_2addr_b64 v123, v[44:45], v[32:33] offset0:70 offset1:77
	v_fma_f64 v[32:33], v[6:7], s[28:29], -v[34:35]
	v_fma_f64 v[34:35], v[6:7], s[42:43], -v[46:47]
	s_delay_alu instid0(VALU_DEP_2) | instskip(SKIP_1) | instid1(VALU_DEP_1)
	v_add_f64 v[8:9], v[32:33], v[8:9]
	v_fma_f64 v[32:33], v[22:23], s[40:41], -v[36:37]
	v_add_f64 v[32:33], v[4:5], v[32:33]
	s_delay_alu instid0(VALU_DEP_1) | instskip(SKIP_1) | instid1(VALU_DEP_1)
	v_add_f64 v[32:33], v[34:35], v[32:33]
	v_fma_f64 v[34:35], v[14:15], s[40:41], -v[48:49]
	v_add_f64 v[8:9], v[34:35], v[8:9]
	v_fma_f64 v[34:35], v[14:15], s[12:13], -v[50:51]
	s_delay_alu instid0(VALU_DEP_1) | instskip(SKIP_1) | instid1(VALU_DEP_1)
	v_add_f64 v[32:33], v[34:35], v[32:33]
	v_fma_f64 v[34:35], v[16:17], s[50:51], -v[52:53]
	v_add_f64 v[8:9], v[34:35], v[8:9]
	v_fma_f64 v[34:35], v[16:17], s[20:21], -v[54:55]
	;; [unrolled: 5-line block ×6, first 2 shown]
	s_delay_alu instid0(VALU_DEP_1) | instskip(SKIP_4) | instid1(VALU_DEP_2)
	v_add_f64 v[32:33], v[34:35], v[32:33]
	v_fma_f64 v[34:35], v[6:7], s[22:23], -v[80:81]
	ds_store_2addr_b64 v123, v[32:33], v[8:9] offset0:84 offset1:91
	v_fma_f64 v[8:9], v[22:23], s[12:13], -v[72:73]
	v_fma_f64 v[32:33], v[6:7], s[14:15], -v[78:79]
	v_add_f64 v[8:9], v[4:5], v[8:9]
	s_delay_alu instid0(VALU_DEP_1) | instskip(SKIP_1) | instid1(VALU_DEP_1)
	v_add_f64 v[8:9], v[32:33], v[8:9]
	v_fma_f64 v[32:33], v[22:23], s[20:21], -v[76:77]
	v_add_f64 v[32:33], v[4:5], v[32:33]
	s_delay_alu instid0(VALU_DEP_1) | instskip(SKIP_1) | instid1(VALU_DEP_1)
	v_add_f64 v[32:33], v[34:35], v[32:33]
	v_fma_f64 v[34:35], v[14:15], s[22:23], -v[82:83]
	v_add_f64 v[8:9], v[34:35], v[8:9]
	v_fma_f64 v[34:35], v[14:15], s[28:29], -v[84:85]
	s_delay_alu instid0(VALU_DEP_1) | instskip(SKIP_1) | instid1(VALU_DEP_1)
	v_add_f64 v[32:33], v[34:35], v[32:33]
	v_fma_f64 v[34:35], v[16:17], s[28:29], -v[86:87]
	v_add_f64 v[8:9], v[34:35], v[8:9]
	v_fma_f64 v[34:35], v[16:17], s[40:41], -v[88:89]
	;; [unrolled: 5-line block ×6, first 2 shown]
	s_delay_alu instid0(VALU_DEP_1) | instskip(SKIP_2) | instid1(VALU_DEP_1)
	v_add_f64 v[32:33], v[34:35], v[32:33]
	ds_store_2addr_b64 v123, v[32:33], v[8:9] offset0:98 offset1:105
	v_mul_f64 v[8:9], v[26:27], s[46:47]
	v_fma_f64 v[26:27], v[22:23], s[50:51], v[8:9]
	v_fma_f64 v[8:9], v[22:23], s[50:51], -v[8:9]
	s_delay_alu instid0(VALU_DEP_2) | instskip(NEXT) | instid1(VALU_DEP_2)
	v_add_f64 v[22:23], v[4:5], v[26:27]
	v_add_f64 v[8:9], v[4:5], v[8:9]
	;; [unrolled: 1-line block ×3, first 2 shown]
	v_fma_f64 v[26:27], v[6:7], s[12:13], v[24:25]
	s_delay_alu instid0(VALU_DEP_2) | instskip(NEXT) | instid1(VALU_DEP_2)
	v_add_f64 v[4:5], v[4:5], v[146:147]
	v_add_f64 v[22:23], v[26:27], v[22:23]
	v_mul_f64 v[26:27], v[30:31], s[16:17]
	s_delay_alu instid0(VALU_DEP_3) | instskip(NEXT) | instid1(VALU_DEP_2)
	v_add_f64 v[4:5], v[4:5], v[202:203]
	v_fma_f64 v[30:31], v[14:15], s[20:21], v[26:27]
	s_delay_alu instid0(VALU_DEP_2) | instskip(NEXT) | instid1(VALU_DEP_2)
	v_add_f64 v[4:5], v[4:5], v[128:129]
	v_add_f64 v[22:23], v[30:31], v[22:23]
	v_mul_f64 v[30:31], v[40:41], s[10:11]
	s_delay_alu instid0(VALU_DEP_3) | instskip(NEXT) | instid1(VALU_DEP_2)
	v_add_f64 v[4:5], v[4:5], v[192:193]
	;; [unrolled: 7-line block ×6, first 2 shown]
	v_fma_f64 v[42:43], v[38:39], s[28:29], v[40:41]
	s_delay_alu instid0(VALU_DEP_2) | instskip(NEXT) | instid1(VALU_DEP_2)
	v_add_f64 v[4:5], v[4:5], v[148:149]
	v_add_f64 v[22:23], v[42:43], v[22:23]
	s_delay_alu instid0(VALU_DEP_2) | instskip(NEXT) | instid1(VALU_DEP_1)
	v_add_f64 v[4:5], v[4:5], v[142:143]
	v_add_f64 v[4:5], v[4:5], v[10:11]
	ds_store_2addr_b64 v123, v[4:5], v[22:23] offset1:7
	v_fma_f64 v[4:5], v[6:7], s[12:13], -v[24:25]
	v_fma_f64 v[6:7], v[14:15], s[20:21], -v[26:27]
	s_delay_alu instid0(VALU_DEP_2) | instskip(SKIP_1) | instid1(VALU_DEP_2)
	v_add_f64 v[4:5], v[4:5], v[8:9]
	v_fma_f64 v[8:9], v[16:17], s[14:15], -v[30:31]
	v_add_f64 v[4:5], v[6:7], v[4:5]
	v_fma_f64 v[6:7], v[18:19], s[40:41], -v[32:33]
	s_delay_alu instid0(VALU_DEP_2) | instskip(SKIP_1) | instid1(VALU_DEP_2)
	v_add_f64 v[4:5], v[8:9], v[4:5]
	v_fma_f64 v[8:9], v[20:21], s[22:23], -v[34:35]
	v_add_f64 v[4:5], v[6:7], v[4:5]
	;; [unrolled: 5-line block ×3, first 2 shown]
	s_delay_alu instid0(VALU_DEP_1)
	v_add_f64 v[4:5], v[8:9], v[4:5]
	ds_store_b64 v123, v[4:5] offset:896
	v_lshlrev_b32_e32 v4, 3, v230
	s_clause 0x1
	scratch_store_b64 off, v[188:189], off offset:436
	scratch_store_b32 off, v4, off offset:444
	s_and_saveexec_b32 s1, s0
	s_cbranch_execz .LBB0_18
; %bb.17:
	s_clause 0x3
	scratch_load_b64 v[4:5], off, off offset:60
	scratch_load_b64 v[6:7], off, off offset:300
	;; [unrolled: 1-line block ×4, first 2 shown]
	s_waitcnt vmcnt(2)
	v_add_f64 v[6:7], v[6:7], -v[4:5]
	s_waitcnt vmcnt(0)
	v_add_f64 v[4:5], v[160:161], v[164:165]
	s_delay_alu instid0(VALU_DEP_2) | instskip(SKIP_1) | instid1(VALU_DEP_2)
	v_mul_f64 v[8:9], v[6:7], s[36:37]
	v_mul_f64 v[24:25], v[6:7], s[18:19]
	v_fma_f64 v[14:15], v[4:5], s[42:43], v[8:9]
	v_fma_f64 v[8:9], v[4:5], s[42:43], -v[8:9]
	s_delay_alu instid0(VALU_DEP_2)
	v_add_f64 v[18:19], v[238:239], v[14:15]
	s_clause 0x3
	scratch_load_b64 v[14:15], off, off offset:68
	scratch_load_b64 v[16:17], off, off offset:268
	;; [unrolled: 1-line block ×4, first 2 shown]
	v_add_f64 v[8:9], v[238:239], v[8:9]
	s_waitcnt vmcnt(2)
	v_add_f64 v[16:17], v[16:17], -v[14:15]
	s_waitcnt vmcnt(0)
	v_add_f64 v[14:15], v[134:135], v[150:151]
	s_delay_alu instid0(VALU_DEP_2) | instskip(SKIP_2) | instid1(VALU_DEP_3)
	v_mul_f64 v[20:21], v[16:17], s[48:49]
	v_mul_f64 v[26:27], v[16:17], s[34:35]
	;; [unrolled: 1-line block ×3, first 2 shown]
	v_fma_f64 v[22:23], v[14:15], s[20:21], v[20:21]
	s_delay_alu instid0(VALU_DEP_3) | instskip(SKIP_1) | instid1(VALU_DEP_4)
	v_fma_f64 v[28:29], v[14:15], s[40:41], v[26:27]
	v_fma_f64 v[20:21], v[14:15], s[20:21], -v[20:21]
	v_fma_f64 v[88:89], v[14:15], s[14:15], -v[86:87]
	s_delay_alu instid0(VALU_DEP_4) | instskip(SKIP_1) | instid1(VALU_DEP_4)
	v_add_f64 v[22:23], v[22:23], v[18:19]
	v_fma_f64 v[18:19], v[4:5], s[22:23], v[24:25]
	v_add_f64 v[8:9], v[20:21], v[8:9]
	v_fma_f64 v[20:21], v[4:5], s[22:23], -v[24:25]
	s_delay_alu instid0(VALU_DEP_3) | instskip(NEXT) | instid1(VALU_DEP_2)
	v_add_f64 v[18:19], v[238:239], v[18:19]
	v_add_f64 v[20:21], v[238:239], v[20:21]
	s_delay_alu instid0(VALU_DEP_2)
	v_add_f64 v[28:29], v[28:29], v[18:19]
	s_clause 0x3
	scratch_load_b64 v[18:19], off, off offset:76
	scratch_load_b64 v[30:31], off, off offset:252
	scratch_load_b64 v[136:137], off, off offset:244
	scratch_load_b64 v[140:141], off, off offset:276
	s_waitcnt vmcnt(2)
	v_add_f64 v[30:31], v[30:31], -v[18:19]
	s_waitcnt vmcnt(0)
	v_add_f64 v[18:19], v[136:137], v[140:141]
	s_delay_alu instid0(VALU_DEP_2) | instskip(NEXT) | instid1(VALU_DEP_1)
	v_mul_f64 v[32:33], v[30:31], s[10:11]
	v_fma_f64 v[34:35], v[18:19], s[14:15], v[32:33]
	s_delay_alu instid0(VALU_DEP_1) | instskip(SKIP_1) | instid1(VALU_DEP_1)
	v_add_f64 v[22:23], v[34:35], v[22:23]
	v_mul_f64 v[34:35], v[30:31], s[46:47]
	v_fma_f64 v[36:37], v[18:19], s[50:51], v[34:35]
	s_delay_alu instid0(VALU_DEP_1)
	v_add_f64 v[28:29], v[36:37], v[28:29]
	s_clause 0x3
	scratch_load_b64 v[36:37], off, off offset:84
	scratch_load_b64 v[38:39], off, off offset:228
	scratch_load_b64 v[132:133], off, off offset:220
	scratch_load_b64 v[138:139], off, off offset:260
	s_waitcnt vmcnt(2)
	v_add_f64 v[36:37], v[38:39], -v[36:37]
	s_waitcnt vmcnt(0)
	v_add_f64 v[38:39], v[132:133], v[138:139]
	s_delay_alu instid0(VALU_DEP_2) | instskip(NEXT) | instid1(VALU_DEP_1)
	v_mul_f64 v[40:41], v[36:37], s[56:57]
	v_fma_f64 v[42:43], v[38:39], s[22:23], v[40:41]
	s_delay_alu instid0(VALU_DEP_1) | instskip(SKIP_1) | instid1(VALU_DEP_1)
	v_add_f64 v[22:23], v[42:43], v[22:23]
	v_mul_f64 v[42:43], v[36:37], s[36:37]
	v_fma_f64 v[44:45], v[38:39], s[42:43], v[42:43]
	s_delay_alu instid0(VALU_DEP_1)
	;; [unrolled: 18-line block ×3, first 2 shown]
	v_add_f64 v[28:29], v[52:53], v[28:29]
	s_clause 0x7
	scratch_load_b64 v[52:53], off, off offset:100
	scratch_load_b64 v[54:55], off, off offset:180
	;; [unrolled: 1-line block ×8, first 2 shown]
	s_waitcnt vmcnt(6)
	v_add_f64 v[52:53], v[54:55], -v[52:53]
	s_waitcnt vmcnt(4)
	v_add_f64 v[54:55], v[120:121], v[124:125]
	s_waitcnt vmcnt(0)
	v_add_f64 v[66:67], v[116:117], v[118:119]
	s_delay_alu instid0(VALU_DEP_3) | instskip(NEXT) | instid1(VALU_DEP_1)
	v_mul_f64 v[56:57], v[52:53], s[24:25]
	v_fma_f64 v[62:63], v[54:55], s[28:29], v[56:57]
	s_delay_alu instid0(VALU_DEP_1) | instskip(SKIP_1) | instid1(VALU_DEP_1)
	v_add_f64 v[22:23], v[62:63], v[22:23]
	v_mul_f64 v[62:63], v[52:53], s[4:5]
	v_fma_f64 v[64:65], v[54:55], s[12:13], v[62:63]
	s_delay_alu instid0(VALU_DEP_1)
	v_add_f64 v[28:29], v[64:65], v[28:29]
	v_add_f64 v[64:65], v[60:61], -v[58:59]
	s_clause 0x1
	scratch_load_b64 v[58:59], off, off offset:116
	scratch_load_b64 v[60:61], off, off offset:124
	v_mul_f64 v[68:69], v[64:65], s[44:45]
	s_delay_alu instid0(VALU_DEP_1) | instskip(NEXT) | instid1(VALU_DEP_1)
	v_fma_f64 v[70:71], v[66:67], s[12:13], v[68:69]
	v_add_f64 v[22:23], v[70:71], v[22:23]
	v_mul_f64 v[70:71], v[64:65], s[24:25]
	s_delay_alu instid0(VALU_DEP_1) | instskip(NEXT) | instid1(VALU_DEP_1)
	v_fma_f64 v[72:73], v[66:67], s[28:29], v[70:71]
	v_add_f64 v[28:29], v[72:73], v[28:29]
	s_waitcnt vmcnt(0)
	v_add_f64 v[72:73], v[60:61], -v[58:59]
	s_clause 0x3
	scratch_load_b64 v[60:61], off, off offset:140
	scratch_load_b64 v[114:115], off, off offset:148
	scratch_load_b32 v58, off, off
	scratch_load_b32 v59, off, off offset:444
	v_mul_f64 v[76:77], v[72:73], s[30:31]
	s_waitcnt vmcnt(2)
	v_add_f64 v[74:75], v[60:61], v[114:115]
	s_waitcnt vmcnt(0)
	v_add3_u32 v58, 0, v59, v58
	s_delay_alu instid0(VALU_DEP_1) | instskip(NEXT) | instid1(VALU_DEP_3)
	v_add_nc_u32_e32 v59, 0x1000, v58
	v_fma_f64 v[78:79], v[74:75], s[40:41], v[76:77]
	s_delay_alu instid0(VALU_DEP_1) | instskip(SKIP_1) | instid1(VALU_DEP_1)
	v_add_f64 v[22:23], v[78:79], v[22:23]
	v_mul_f64 v[78:79], v[72:73], s[48:49]
	v_fma_f64 v[80:81], v[74:75], s[20:21], v[78:79]
	s_delay_alu instid0(VALU_DEP_1)
	v_add_f64 v[28:29], v[80:81], v[28:29]
	v_mul_f64 v[80:81], v[16:17], s[52:53]
	ds_store_2addr_b64 v59, v[28:29], v[22:23] offset0:6 offset1:13
	v_mul_f64 v[22:23], v[6:7], s[24:25]
	v_fma_f64 v[82:83], v[14:15], s[50:51], -v[80:81]
	v_fma_f64 v[80:81], v[14:15], s[50:51], v[80:81]
	s_delay_alu instid0(VALU_DEP_3) | instskip(SKIP_1) | instid1(VALU_DEP_2)
	v_fma_f64 v[28:29], v[4:5], s[28:29], -v[22:23]
	v_fma_f64 v[22:23], v[4:5], s[28:29], v[22:23]
	v_add_f64 v[28:29], v[238:239], v[28:29]
	s_delay_alu instid0(VALU_DEP_2) | instskip(NEXT) | instid1(VALU_DEP_2)
	v_add_f64 v[22:23], v[238:239], v[22:23]
	v_add_f64 v[28:29], v[82:83], v[28:29]
	s_delay_alu instid0(VALU_DEP_2) | instskip(SKIP_1) | instid1(VALU_DEP_1)
	v_add_f64 v[22:23], v[80:81], v[22:23]
	v_mul_f64 v[80:81], v[30:31], s[36:37]
	v_fma_f64 v[82:83], v[18:19], s[42:43], -v[80:81]
	v_fma_f64 v[80:81], v[18:19], s[42:43], v[80:81]
	s_delay_alu instid0(VALU_DEP_2) | instskip(NEXT) | instid1(VALU_DEP_2)
	v_add_f64 v[28:29], v[82:83], v[28:29]
	v_add_f64 v[22:23], v[80:81], v[22:23]
	v_mul_f64 v[80:81], v[36:37], s[44:45]
	s_delay_alu instid0(VALU_DEP_1) | instskip(SKIP_1) | instid1(VALU_DEP_2)
	v_fma_f64 v[82:83], v[38:39], s[12:13], -v[80:81]
	v_fma_f64 v[80:81], v[38:39], s[12:13], v[80:81]
	v_add_f64 v[28:29], v[82:83], v[28:29]
	s_delay_alu instid0(VALU_DEP_2) | instskip(SKIP_1) | instid1(VALU_DEP_1)
	v_add_f64 v[22:23], v[80:81], v[22:23]
	v_mul_f64 v[80:81], v[44:45], s[18:19]
	v_fma_f64 v[82:83], v[46:47], s[22:23], -v[80:81]
	v_fma_f64 v[80:81], v[46:47], s[22:23], v[80:81]
	s_delay_alu instid0(VALU_DEP_2) | instskip(NEXT) | instid1(VALU_DEP_2)
	v_add_f64 v[28:29], v[82:83], v[28:29]
	v_add_f64 v[22:23], v[80:81], v[22:23]
	v_mul_f64 v[80:81], v[52:53], s[48:49]
	s_delay_alu instid0(VALU_DEP_1) | instskip(SKIP_1) | instid1(VALU_DEP_2)
	v_fma_f64 v[82:83], v[54:55], s[20:21], -v[80:81]
	v_fma_f64 v[80:81], v[54:55], s[20:21], v[80:81]
	;; [unrolled: 13-line block ×3, first 2 shown]
	v_add_f64 v[28:29], v[82:83], v[28:29]
	s_delay_alu instid0(VALU_DEP_2) | instskip(SKIP_3) | instid1(VALU_DEP_2)
	v_add_f64 v[22:23], v[80:81], v[22:23]
	ds_store_2addr_b64 v59, v[22:23], v[28:29] offset0:20 offset1:27
	v_fma_f64 v[22:23], v[14:15], s[40:41], -v[26:27]
	v_mul_f64 v[28:29], v[16:17], s[24:25]
	v_add_f64 v[20:21], v[22:23], v[20:21]
	v_fma_f64 v[22:23], v[18:19], s[14:15], -v[32:33]
	s_delay_alu instid0(VALU_DEP_3) | instskip(NEXT) | instid1(VALU_DEP_2)
	v_fma_f64 v[32:33], v[14:15], s[28:29], -v[28:29]
	v_add_f64 v[8:9], v[22:23], v[8:9]
	v_fma_f64 v[22:23], v[18:19], s[50:51], -v[34:35]
	s_delay_alu instid0(VALU_DEP_1) | instskip(SKIP_1) | instid1(VALU_DEP_1)
	v_add_f64 v[20:21], v[22:23], v[20:21]
	v_fma_f64 v[22:23], v[38:39], s[22:23], -v[40:41]
	v_add_f64 v[8:9], v[22:23], v[8:9]
	v_fma_f64 v[22:23], v[38:39], s[42:43], -v[42:43]
	s_delay_alu instid0(VALU_DEP_1) | instskip(SKIP_1) | instid1(VALU_DEP_1)
	v_add_f64 v[20:21], v[22:23], v[20:21]
	;; [unrolled: 5-line block ×5, first 2 shown]
	v_fma_f64 v[22:23], v[74:75], s[40:41], -v[76:77]
	v_add_f64 v[8:9], v[22:23], v[8:9]
	v_fma_f64 v[22:23], v[74:75], s[20:21], -v[78:79]
	s_delay_alu instid0(VALU_DEP_1) | instskip(SKIP_4) | instid1(VALU_DEP_2)
	v_add_f64 v[20:21], v[22:23], v[20:21]
	v_mul_f64 v[22:23], v[16:17], s[38:39]
	ds_store_2addr_b64 v59, v[8:9], v[20:21] offset0:34 offset1:41
	v_mul_f64 v[8:9], v[6:7], s[30:31]
	v_fma_f64 v[24:25], v[14:15], s[42:43], -v[22:23]
	v_fma_f64 v[20:21], v[4:5], s[40:41], -v[8:9]
	v_fma_f64 v[8:9], v[4:5], s[40:41], v[8:9]
	s_delay_alu instid0(VALU_DEP_2) | instskip(NEXT) | instid1(VALU_DEP_2)
	v_add_f64 v[20:21], v[238:239], v[20:21]
	v_add_f64 v[8:9], v[238:239], v[8:9]
	s_delay_alu instid0(VALU_DEP_2) | instskip(SKIP_1) | instid1(VALU_DEP_1)
	v_add_f64 v[20:21], v[24:25], v[20:21]
	v_mul_f64 v[24:25], v[6:7], s[10:11]
	v_fma_f64 v[26:27], v[4:5], s[14:15], -v[24:25]
	s_delay_alu instid0(VALU_DEP_1) | instskip(NEXT) | instid1(VALU_DEP_1)
	v_add_f64 v[26:27], v[238:239], v[26:27]
	v_add_f64 v[26:27], v[32:33], v[26:27]
	v_mul_f64 v[32:33], v[30:31], s[44:45]
	s_delay_alu instid0(VALU_DEP_1) | instskip(NEXT) | instid1(VALU_DEP_1)
	v_fma_f64 v[34:35], v[18:19], s[12:13], -v[32:33]
	v_add_f64 v[20:21], v[34:35], v[20:21]
	v_mul_f64 v[34:35], v[30:31], s[34:35]
	s_delay_alu instid0(VALU_DEP_1) | instskip(NEXT) | instid1(VALU_DEP_1)
	v_fma_f64 v[40:41], v[18:19], s[40:41], -v[34:35]
	;; [unrolled: 4-line block ×12, first 2 shown]
	v_add_f64 v[26:27], v[80:81], v[26:27]
	v_mul_f64 v[80:81], v[16:17], s[18:19]
	ds_store_2addr_b64 v59, v[20:21], v[26:27] offset0:48 offset1:55
	v_mul_f64 v[20:21], v[6:7], s[16:17]
	v_fma_f64 v[82:83], v[14:15], s[22:23], -v[80:81]
	s_delay_alu instid0(VALU_DEP_2) | instskip(SKIP_1) | instid1(VALU_DEP_2)
	v_fma_f64 v[26:27], v[4:5], s[20:21], -v[20:21]
	v_fma_f64 v[20:21], v[4:5], s[20:21], v[20:21]
	v_add_f64 v[26:27], v[238:239], v[26:27]
	s_delay_alu instid0(VALU_DEP_2) | instskip(NEXT) | instid1(VALU_DEP_2)
	v_add_f64 v[20:21], v[238:239], v[20:21]
	v_add_f64 v[26:27], v[82:83], v[26:27]
	v_mul_f64 v[82:83], v[6:7], s[4:5]
	v_mul_f64 v[6:7], v[6:7], s[46:47]
	s_delay_alu instid0(VALU_DEP_2) | instskip(NEXT) | instid1(VALU_DEP_1)
	v_fma_f64 v[84:85], v[4:5], s[12:13], -v[82:83]
	v_add_f64 v[84:85], v[238:239], v[84:85]
	s_delay_alu instid0(VALU_DEP_1) | instskip(SKIP_1) | instid1(VALU_DEP_1)
	v_add_f64 v[84:85], v[88:89], v[84:85]
	v_mul_f64 v[88:89], v[30:31], s[26:27]
	v_fma_f64 v[90:91], v[18:19], s[28:29], -v[88:89]
	s_delay_alu instid0(VALU_DEP_1) | instskip(SKIP_1) | instid1(VALU_DEP_1)
	v_add_f64 v[26:27], v[90:91], v[26:27]
	v_mul_f64 v[90:91], v[30:31], s[18:19]
	v_fma_f64 v[92:93], v[18:19], s[22:23], -v[90:91]
	;; [unrolled: 4-line block ×12, first 2 shown]
	s_delay_alu instid0(VALU_DEP_1) | instskip(SKIP_4) | instid1(VALU_DEP_3)
	v_add_f64 v[84:85], v[112:113], v[84:85]
	ds_store_2addr_b64 v59, v[26:27], v[84:85] offset0:62 offset1:69
	v_fma_f64 v[26:27], v[14:15], s[22:23], v[80:81]
	v_fma_f64 v[80:81], v[14:15], s[14:15], v[86:87]
	v_add_nc_u32_e32 v59, 0x800, v58
	v_add_f64 v[20:21], v[26:27], v[20:21]
	v_fma_f64 v[26:27], v[4:5], s[12:13], v[82:83]
	s_delay_alu instid0(VALU_DEP_1) | instskip(NEXT) | instid1(VALU_DEP_1)
	v_add_f64 v[26:27], v[238:239], v[26:27]
	v_add_f64 v[26:27], v[80:81], v[26:27]
	v_fma_f64 v[80:81], v[18:19], s[28:29], v[88:89]
	s_delay_alu instid0(VALU_DEP_1) | instskip(SKIP_1) | instid1(VALU_DEP_1)
	v_add_f64 v[20:21], v[80:81], v[20:21]
	v_fma_f64 v[80:81], v[18:19], s[22:23], v[90:91]
	v_add_f64 v[26:27], v[80:81], v[26:27]
	v_fma_f64 v[80:81], v[38:39], s[40:41], v[92:93]
	s_delay_alu instid0(VALU_DEP_1) | instskip(SKIP_1) | instid1(VALU_DEP_1)
	v_add_f64 v[20:21], v[80:81], v[20:21]
	v_fma_f64 v[80:81], v[38:39], s[28:29], v[94:95]
	;; [unrolled: 5-line block ×6, first 2 shown]
	v_add_f64 v[26:27], v[80:81], v[26:27]
	ds_store_2addr_b64 v59, v[26:27], v[20:21] offset0:234 offset1:241
	v_fma_f64 v[20:21], v[14:15], s[42:43], v[22:23]
	v_fma_f64 v[22:23], v[14:15], s[28:29], v[28:29]
	s_delay_alu instid0(VALU_DEP_2) | instskip(SKIP_1) | instid1(VALU_DEP_1)
	v_add_f64 v[8:9], v[20:21], v[8:9]
	v_fma_f64 v[20:21], v[4:5], s[14:15], v[24:25]
	v_add_f64 v[20:21], v[238:239], v[20:21]
	s_delay_alu instid0(VALU_DEP_1) | instskip(SKIP_1) | instid1(VALU_DEP_1)
	v_add_f64 v[20:21], v[22:23], v[20:21]
	v_fma_f64 v[22:23], v[18:19], s[12:13], v[32:33]
	v_add_f64 v[8:9], v[22:23], v[8:9]
	v_fma_f64 v[22:23], v[18:19], s[40:41], v[34:35]
	s_delay_alu instid0(VALU_DEP_1) | instskip(SKIP_1) | instid1(VALU_DEP_1)
	v_add_f64 v[20:21], v[22:23], v[20:21]
	v_fma_f64 v[22:23], v[38:39], s[20:21], v[40:41]
	v_add_f64 v[8:9], v[22:23], v[8:9]
	v_fma_f64 v[22:23], v[38:39], s[50:51], v[42:43]
	;; [unrolled: 5-line block ×6, first 2 shown]
	s_delay_alu instid0(VALU_DEP_1) | instskip(SKIP_4) | instid1(VALU_DEP_3)
	v_add_f64 v[20:21], v[22:23], v[20:21]
	ds_store_2addr_b64 v59, v[20:21], v[8:9] offset0:248 offset1:255
	v_mul_f64 v[8:9], v[16:17], s[4:5]
	v_fma_f64 v[16:17], v[4:5], s[50:51], v[6:7]
	v_fma_f64 v[4:5], v[4:5], s[50:51], -v[6:7]
	v_fma_f64 v[20:21], v[14:15], s[12:13], v[8:9]
	s_delay_alu instid0(VALU_DEP_3) | instskip(SKIP_1) | instid1(VALU_DEP_4)
	v_add_f64 v[16:17], v[238:239], v[16:17]
	v_fma_f64 v[6:7], v[14:15], s[12:13], -v[8:9]
	v_add_f64 v[4:5], v[238:239], v[4:5]
	s_delay_alu instid0(VALU_DEP_3) | instskip(SKIP_1) | instid1(VALU_DEP_3)
	v_add_f64 v[16:17], v[20:21], v[16:17]
	v_mul_f64 v[20:21], v[30:31], s[16:17]
	v_add_f64 v[4:5], v[6:7], v[4:5]
	s_delay_alu instid0(VALU_DEP_2) | instskip(SKIP_1) | instid1(VALU_DEP_2)
	v_fma_f64 v[22:23], v[18:19], s[20:21], v[20:21]
	v_fma_f64 v[8:9], v[18:19], s[20:21], -v[20:21]
	v_add_f64 v[16:17], v[22:23], v[16:17]
	v_mul_f64 v[22:23], v[36:37], s[10:11]
	s_delay_alu instid0(VALU_DEP_3) | instskip(NEXT) | instid1(VALU_DEP_2)
	v_add_f64 v[4:5], v[8:9], v[4:5]
	v_fma_f64 v[24:25], v[38:39], s[14:15], v[22:23]
	v_fma_f64 v[6:7], v[38:39], s[14:15], -v[22:23]
	s_delay_alu instid0(VALU_DEP_2) | instskip(SKIP_1) | instid1(VALU_DEP_3)
	v_add_f64 v[16:17], v[24:25], v[16:17]
	v_mul_f64 v[24:25], v[44:45], s[30:31]
	v_add_f64 v[4:5], v[6:7], v[4:5]
	s_delay_alu instid0(VALU_DEP_2) | instskip(SKIP_1) | instid1(VALU_DEP_2)
	v_fma_f64 v[26:27], v[46:47], s[40:41], v[24:25]
	v_fma_f64 v[8:9], v[46:47], s[40:41], -v[24:25]
	v_add_f64 v[16:17], v[26:27], v[16:17]
	v_mul_f64 v[26:27], v[52:53], s[18:19]
	s_delay_alu instid0(VALU_DEP_3) | instskip(NEXT) | instid1(VALU_DEP_2)
	v_add_f64 v[4:5], v[8:9], v[4:5]
	v_fma_f64 v[28:29], v[54:55], s[22:23], v[26:27]
	v_fma_f64 v[6:7], v[54:55], s[22:23], -v[26:27]
	s_delay_alu instid0(VALU_DEP_2) | instskip(SKIP_1) | instid1(VALU_DEP_3)
	;; [unrolled: 13-line block ×3, first 2 shown]
	v_add_f64 v[16:17], v[32:33], v[16:17]
	v_add_f64 v[32:33], v[238:239], v[160:161]
	;; [unrolled: 1-line block ×3, first 2 shown]
	s_delay_alu instid0(VALU_DEP_2) | instskip(SKIP_2) | instid1(VALU_DEP_1)
	v_add_f64 v[32:33], v[32:33], v[134:135]
	ds_store_b64 v58, v[4:5] offset:4704
	v_add_f64 v[32:33], v[32:33], v[136:137]
	v_add_f64 v[32:33], v[32:33], v[132:133]
	s_delay_alu instid0(VALU_DEP_1) | instskip(NEXT) | instid1(VALU_DEP_1)
	v_add_f64 v[32:33], v[32:33], v[126:127]
	v_add_f64 v[32:33], v[32:33], v[120:121]
	s_delay_alu instid0(VALU_DEP_1) | instskip(NEXT) | instid1(VALU_DEP_1)
	;; [unrolled: 3-line block ×6, first 2 shown]
	v_add_f64 v[32:33], v[32:33], v[150:151]
	v_add_f64 v[32:33], v[32:33], v[164:165]
	ds_store_2addr_b64 v59, v[32:33], v[16:17] offset0:220 offset1:227
.LBB0_18:
	s_or_b32 exec_lo, exec_lo, s1
	scratch_load_b64 v[4:5], off, off offset:16 ; 8-byte Folded Reload
	v_add_f64 v[32:33], v[2:3], -v[144:145]
	v_add_f64 v[6:7], v[196:197], v[12:13]
	v_add_f64 v[34:35], v[216:217], -v[231:232]
	v_add_f64 v[36:37], v[218:219], -v[228:229]
	;; [unrolled: 1-line block ×3, first 2 shown]
	v_dual_mov_b32 v154, v206 :: v_dual_mov_b32 v155, v207
	s_delay_alu instid0(VALU_DEP_1)
	v_add_f64 v[14:15], v[204:205], v[154:155]
	s_waitcnt vmcnt(0)
	v_add_f64 v[8:9], v[12:13], v[4:5]
	s_clause 0x1
	scratch_load_b64 v[16:17], off, off offset:576
	scratch_load_b64 v[4:5], off, off offset:32
	v_add_f64 v[12:13], v[224:225], -v[152:153]
	v_mul_f64 v[28:29], v[8:9], s[50:51]
	v_mul_f64 v[42:43], v[8:9], s[20:21]
	;; [unrolled: 1-line block ×6, first 2 shown]
	v_fma_f64 v[112:113], v[32:33], s[52:53], v[28:29]
	v_fma_f64 v[114:115], v[32:33], s[46:47], v[28:29]
	v_fma_f64 v[118:119], v[32:33], s[48:49], v[42:43]
	v_fma_f64 v[42:43], v[32:33], s[16:17], v[42:43]
	v_fma_f64 v[120:121], v[32:33], s[54:55], v[44:45]
	v_fma_f64 v[44:45], v[32:33], s[10:11], v[44:45]
	v_fma_f64 v[126:127], v[32:33], s[34:35], v[46:47]
	v_fma_f64 v[46:47], v[32:33], s[30:31], v[46:47]
	v_fma_f64 v[130:131], v[32:33], s[56:57], v[48:49]
	v_fma_f64 v[48:49], v[32:33], s[18:19], v[48:49]
	v_fma_f64 v[132:133], v[32:33], s[38:39], v[50:51]
	v_fma_f64 v[50:51], v[32:33], s[36:37], v[50:51]
	v_add_f64 v[112:113], v[196:197], v[112:113]
	v_add_f64 v[114:115], v[196:197], v[114:115]
	;; [unrolled: 1-line block ×8, first 2 shown]
	s_waitcnt vmcnt(1)
	v_add_f64 v[26:27], v[6:7], v[16:17]
	s_waitcnt vmcnt(0)
	v_add_f64 v[18:19], v[16:17], v[4:5]
	s_clause 0x1
	scratch_load_b64 v[30:31], off, off offset:568
	scratch_load_b64 v[4:5], off, off offset:40
	v_add_f64 v[16:17], v[222:223], -v[10:11]
	v_mul_f64 v[10:11], v[8:9], s[12:13]
	v_mul_f64 v[8:9], v[8:9], s[28:29]
	v_add_f64 v[6:7], v[178:179], v[168:169]
	v_mul_f64 v[52:53], v[18:19], s[12:13]
	v_mul_f64 v[54:55], v[18:19], s[14:15]
	;; [unrolled: 1-line block ×8, first 2 shown]
	v_fma_f64 v[116:117], v[32:33], s[44:45], v[10:11]
	v_fma_f64 v[10:11], v[32:33], s[4:5], v[10:11]
	;; [unrolled: 1-line block ×4, first 2 shown]
	v_mul_f64 v[150:151], v[6:7], s[28:29]
	v_mul_f64 v[18:19], v[14:15], s[42:43]
	v_fma_f64 v[32:33], v[34:35], s[44:45], v[52:53]
	v_fma_f64 v[52:53], v[34:35], s[4:5], v[52:53]
	;; [unrolled: 1-line block ×15, first 2 shown]
	v_add_f64 v[116:117], v[196:197], v[116:117]
	v_fma_f64 v[34:35], v[34:35], s[52:53], v[70:71]
	v_add_f64 v[10:11], v[196:197], v[10:11]
	v_add_f64 v[8:9], v[196:197], v[8:9]
	;; [unrolled: 1-line block ×3, first 2 shown]
	v_mul_f64 v[112:113], v[6:7], s[20:21]
	v_add_f64 v[52:53], v[52:53], v[114:115]
	v_mul_f64 v[114:115], v[6:7], s[14:15]
	v_add_f64 v[118:119], v[138:139], v[118:119]
	;; [unrolled: 2-line block ×3, first 2 shown]
	v_add_f64 v[44:45], v[62:63], v[44:45]
	v_add_f64 v[46:47], v[64:65], v[46:47]
	;; [unrolled: 1-line block ×5, first 2 shown]
	v_mul_f64 v[136:137], v[6:7], s[40:41]
	v_add_f64 v[54:55], v[54:55], v[10:11]
	v_add_f64 v[8:9], v[34:35], v[8:9]
	s_waitcnt vmcnt(1)
	v_add_f64 v[110:111], v[26:27], v[30:31]
	s_waitcnt vmcnt(0)
	v_add_f64 v[20:21], v[30:31], v[4:5]
	s_clause 0x3
	scratch_load_b64 v[60:61], off, off offset:560
	scratch_load_b64 v[4:5], off, off offset:48
	;; [unrolled: 1-line block ×4, first 2 shown]
	scratch_store_b64 off, v[168:169], off offset:616 ; 8-byte Folded Spill
	v_mul_f64 v[30:31], v[14:15], s[22:23]
	v_mul_f64 v[72:73], v[20:21], s[20:21]
	;; [unrolled: 1-line block ×9, first 2 shown]
	v_fma_f64 v[70:71], v[36:37], s[48:49], v[72:73]
	v_fma_f64 v[170:171], v[36:37], s[16:17], v[72:73]
	;; [unrolled: 1-line block ×4, first 2 shown]
	v_add_f64 v[72:73], v[196:197], v[120:121]
	v_add_f64 v[74:75], v[196:197], v[126:127]
	;; [unrolled: 1-line block ×5, first 2 shown]
	v_fma_f64 v[245:246], v[36:37], s[24:25], v[76:77]
	v_fma_f64 v[76:77], v[36:37], s[26:27], v[76:77]
	;; [unrolled: 1-line block ×12, first 2 shown]
	v_add_f64 v[32:33], v[70:71], v[32:33]
	v_fma_f64 v[70:71], v[16:17], s[26:27], v[150:151]
	v_add_f64 v[52:53], v[170:171], v[52:53]
	v_add_f64 v[62:63], v[152:153], v[74:75]
	;; [unrolled: 1-line block ×7, first 2 shown]
	v_add_f64 v[126:127], v[202:203], -v[148:149]
	v_add_f64 v[252:253], v[78:79], v[44:45]
	v_add_f64 v[254:255], v[134:135], v[62:63]
	v_fma_f64 v[62:63], v[16:17], s[30:31], v[136:137]
	s_delay_alu instid0(VALU_DEP_1)
	v_add_f64 v[62:63], v[0:1], v[62:63]
	s_waitcnt vmcnt(3)
	v_add_f64 v[110:111], v[110:111], v[60:61]
	s_waitcnt vmcnt(2)
	v_add_f64 v[22:23], v[60:61], v[4:5]
	v_add_f64 v[4:5], v[220:221], -v[214:215]
	s_waitcnt vmcnt(0)
	v_add_f64 v[24:25], v[58:59], v[144:145]
	v_mul_f64 v[60:61], v[6:7], s[50:51]
	v_add_f64 v[86:87], v[110:111], v[58:59]
	v_mul_f64 v[88:89], v[22:23], s[14:15]
	v_mul_f64 v[90:91], v[22:23], s[28:29]
	;; [unrolled: 1-line block ×20, first 2 shown]
	v_add_f64 v[34:35], v[86:87], v[204:205]
	v_fma_f64 v[56:57], v[4:5], s[54:55], v[88:89]
	v_fma_f64 v[168:169], v[4:5], s[10:11], v[88:89]
	v_add_f64 v[88:89], v[140:141], v[72:73]
	v_fma_f64 v[242:243], v[4:5], s[26:27], v[90:91]
	v_fma_f64 v[120:121], v[4:5], s[24:25], v[90:91]
	;; [unrolled: 1-line block ×10, first 2 shown]
	v_add_f64 v[92:93], v[238:239], v[116:117]
	v_add_f64 v[94:95], v[240:241], v[54:55]
	;; [unrolled: 1-line block ×8, first 2 shown]
	v_fma_f64 v[8:9], v[16:17], s[52:53], v[60:61]
	v_fma_f64 v[36:37], v[16:17], s[46:47], v[60:61]
	;; [unrolled: 1-line block ×13, first 2 shown]
	v_mul_f64 v[102:103], v[14:15], s[28:29]
	v_fma_f64 v[74:75], v[12:13], s[36:37], v[106:107]
	v_fma_f64 v[72:73], v[12:13], s[38:39], v[106:107]
	;; [unrolled: 1-line block ×4, first 2 shown]
	v_add_f64 v[106:107], v[0:1], v[178:179]
	v_add_f64 v[250:251], v[132:133], v[88:89]
	;; [unrolled: 1-line block ×3, first 2 shown]
	v_fma_f64 v[46:47], v[16:17], s[48:49], v[112:113]
	v_add_f64 v[124:125], v[0:1], v[70:71]
	v_fma_f64 v[232:233], v[4:5], s[38:39], v[98:99]
	v_fma_f64 v[218:219], v[4:5], s[36:37], v[98:99]
	;; [unrolled: 1-line block ×7, first 2 shown]
	v_mul_f64 v[104:105], v[14:15], s[20:21]
	v_mul_f64 v[98:99], v[14:15], s[14:15]
	;; [unrolled: 1-line block ×3, first 2 shown]
	v_fma_f64 v[118:119], v[12:13], s[16:17], v[40:41]
	v_fma_f64 v[152:153], v[12:13], s[26:27], v[38:39]
	v_fma_f64 v[156:157], v[12:13], s[24:25], v[38:39]
	v_fma_f64 v[196:197], v[12:13], s[10:11], v[20:21]
	v_fma_f64 v[116:117], v[12:13], s[54:55], v[20:21]
	v_add_f64 v[8:9], v[0:1], v[8:9]
	v_add_f64 v[36:37], v[0:1], v[36:37]
	v_add_f64 v[108:109], v[0:1], v[42:43]
	v_add_f64 v[44:45], v[0:1], v[44:45]
	v_add_f64 v[48:49], v[0:1], v[48:49]
	v_add_f64 v[50:51], v[0:1], v[50:51]
	v_add_f64 v[54:55], v[0:1], v[54:55]
	v_add_f64 v[60:61], v[0:1], v[60:61]
	v_add_f64 v[64:65], v[0:1], v[64:65]
	v_add_f64 v[58:59], v[0:1], v[58:59]
	v_add_f64 v[66:67], v[0:1], v[66:67]
	v_add_f64 v[110:111], v[0:1], v[68:69]
	v_add_f64 v[96:97], v[0:1], v[96:97]
	v_fma_f64 v[114:115], v[12:13], s[52:53], v[26:27]
	v_fma_f64 v[76:77], v[12:13], s[46:47], v[26:27]
	;; [unrolled: 1-line block ×8, first 2 shown]
	v_add_f64 v[46:47], v[0:1], v[46:47]
	v_fma_f64 v[0:1], v[2:3], s[26:27], v[102:103]
	v_fma_f64 v[14:15], v[2:3], s[46:47], v[24:25]
	;; [unrolled: 1-line block ×4, first 2 shown]
	v_add_f64 v[150:151], v[218:219], v[240:241]
	v_add_f64 v[32:33], v[56:57], v[32:33]
	;; [unrolled: 1-line block ×5, first 2 shown]
	v_fma_f64 v[30:31], v[2:3], s[10:11], v[98:99]
	v_fma_f64 v[38:39], v[2:3], s[54:55], v[98:99]
	;; [unrolled: 1-line block ×4, first 2 shown]
	v_add_f64 v[98:99], v[146:147], -v[142:143]
	v_add_f64 v[94:95], v[226:227], v[252:253]
	v_add_f64 v[88:89], v[230:231], v[88:89]
	;; [unrolled: 1-line block ×6, first 2 shown]
	scratch_store_b64 off, v[0:1], off offset:592 ; 8-byte Folded Spill
	v_fma_f64 v[0:1], v[2:3], s[24:25], v[102:103]
	scratch_store_b64 off, v[4:5], off offset:552 ; 8-byte Folded Spill
	v_fma_f64 v[4:5], v[2:3], s[52:53], v[24:25]
	v_add_f64 v[116:117], v[116:117], v[150:151]
	v_add_f64 v[32:33], v[206:207], v[32:33]
	;; [unrolled: 1-line block ×11, first 2 shown]
	scratch_store_b64 off, v[0:1], off offset:568 ; 8-byte Folded Spill
	v_fma_f64 v[0:1], v[2:3], s[16:17], v[104:105]
	scratch_store_b64 off, v[4:5], off offset:560 ; 8-byte Folded Spill
	v_add_f64 v[32:33], v[82:83], v[32:33]
	v_add_f64 v[52:53], v[12:13], v[52:53]
	;; [unrolled: 1-line block ×3, first 2 shown]
	scratch_store_b64 off, v[0:1], off offset:576 ; 8-byte Folded Spill
	v_fma_f64 v[0:1], v[2:3], s[48:49], v[104:105]
	scratch_store_b64 off, v[0:1], off offset:584 ; 8-byte Folded Spill
	s_clause 0x1
	scratch_load_b64 v[0:1], off, off offset:520
	scratch_load_b64 v[2:3], off, off offset:536
	s_waitcnt vmcnt(0)
	v_add_f64 v[70:71], v[0:1], -v[2:3]
	s_clause 0x9
	scratch_load_b64 v[0:1], off, off offset:528
	scratch_load_b64 v[158:159], off, off offset:356
	scratch_load_b64 v[4:5], off, off offset:504
	scratch_load_b64 v[28:29], off, off offset:472
	scratch_load_b64 v[146:147], off, off offset:364
	scratch_load_b64 v[112:113], off, off offset:388
	scratch_load_b64 v[218:219], off, off offset:428
	scratch_load_b64 v[24:25], off, off offset:496
	scratch_load_b64 v[26:27], off, off offset:512
	scratch_load_b64 v[140:141], off, off offset:448
	s_waitcnt vmcnt(9)
	v_add_f64 v[0:1], v[174:175], -v[0:1]
	s_waitcnt vmcnt(7)
	v_add_f64 v[2:3], v[4:5], v[158:159]
	v_add_f64 v[102:103], v[106:107], v[4:5]
	scratch_load_b64 v[4:5], off, off offset:480 ; 8-byte Folded Reload
	s_waitcnt vmcnt(7)
	v_add_f64 v[34:35], v[34:35], v[28:29]
	v_mul_f64 v[100:101], v[2:3], s[12:13]
	v_mul_f64 v[106:107], v[2:3], s[22:23]
	s_waitcnt vmcnt(3)
	s_delay_alu instid0(VALU_DEP_3) | instskip(NEXT) | instid1(VALU_DEP_3)
	v_add_f64 v[34:35], v[34:35], v[24:25]
	v_fma_f64 v[104:105], v[98:99], s[44:45], v[100:101]
	v_fma_f64 v[100:101], v[98:99], s[4:5], v[100:101]
	s_waitcnt vmcnt(2)
	s_delay_alu instid0(VALU_DEP_3) | instskip(NEXT) | instid1(VALU_DEP_3)
	v_add_f64 v[34:35], v[34:35], v[26:27]
	v_add_f64 v[8:9], v[104:105], v[8:9]
	v_mul_f64 v[104:105], v[2:3], s[14:15]
	s_delay_alu instid0(VALU_DEP_4) | instskip(NEXT) | instid1(VALU_DEP_2)
	v_add_f64 v[36:37], v[100:101], v[36:37]
	v_fma_f64 v[100:101], v[98:99], s[54:55], v[104:105]
	v_fma_f64 v[104:105], v[98:99], s[10:11], v[104:105]
	s_delay_alu instid0(VALU_DEP_2) | instskip(NEXT) | instid1(VALU_DEP_2)
	v_add_f64 v[100:101], v[100:101], v[108:109]
	v_add_f64 v[44:45], v[104:105], v[44:45]
	v_fma_f64 v[104:105], v[98:99], s[56:57], v[106:107]
	s_delay_alu instid0(VALU_DEP_1) | instskip(SKIP_2) | instid1(VALU_DEP_2)
	v_add_f64 v[46:47], v[104:105], v[46:47]
	v_fma_f64 v[104:105], v[98:99], s[18:19], v[106:107]
	v_mul_f64 v[106:107], v[2:3], s[28:29]
	v_add_f64 v[48:49], v[104:105], v[48:49]
	s_delay_alu instid0(VALU_DEP_2) | instskip(NEXT) | instid1(VALU_DEP_1)
	v_fma_f64 v[104:105], v[98:99], s[26:27], v[106:107]
	v_add_f64 v[50:51], v[104:105], v[50:51]
	v_fma_f64 v[104:105], v[98:99], s[24:25], v[106:107]
	v_mul_f64 v[106:107], v[2:3], s[42:43]
	s_waitcnt vmcnt(0)
	v_add_f64 v[102:103], v[102:103], v[4:5]
	v_add_f64 v[108:109], v[4:5], v[146:147]
	scratch_load_b64 v[4:5], off, off offset:464 ; 8-byte Folded Reload
	v_add_f64 v[54:55], v[104:105], v[54:55]
	v_fma_f64 v[104:105], v[98:99], s[36:37], v[106:107]
	v_mul_f64 v[130:131], v[108:109], s[20:21]
	v_mul_f64 v[132:133], v[108:109], s[22:23]
	s_delay_alu instid0(VALU_DEP_3) | instskip(SKIP_4) | instid1(VALU_DEP_4)
	v_add_f64 v[60:61], v[104:105], v[60:61]
	v_fma_f64 v[104:105], v[98:99], s[38:39], v[106:107]
	v_mul_f64 v[106:107], v[2:3], s[40:41]
	v_fma_f64 v[134:135], v[126:127], s[48:49], v[130:131]
	v_fma_f64 v[130:131], v[126:127], s[16:17], v[130:131]
	v_add_f64 v[62:63], v[104:105], v[62:63]
	s_delay_alu instid0(VALU_DEP_4) | instskip(NEXT) | instid1(VALU_DEP_4)
	v_fma_f64 v[104:105], v[98:99], s[30:31], v[106:107]
	v_add_f64 v[184:185], v[134:135], v[8:9]
	v_fma_f64 v[8:9], v[126:127], s[18:19], v[132:133]
	v_add_f64 v[190:191], v[130:131], v[36:37]
	s_delay_alu instid0(VALU_DEP_4)
	v_add_f64 v[64:65], v[104:105], v[64:65]
	v_fma_f64 v[104:105], v[98:99], s[34:35], v[106:107]
	v_mul_f64 v[106:107], v[2:3], s[20:21]
	v_mul_f64 v[2:3], v[2:3], s[50:51]
	v_add_f64 v[186:187], v[8:9], v[44:45]
	v_mul_f64 v[44:45], v[108:109], s[14:15]
	v_add_f64 v[58:59], v[104:105], v[58:59]
	v_fma_f64 v[104:105], v[98:99], s[16:17], v[106:107]
	v_fma_f64 v[106:107], v[98:99], s[48:49], v[106:107]
	s_delay_alu instid0(VALU_DEP_2)
	v_add_f64 v[66:67], v[104:105], v[66:67]
	v_fma_f64 v[104:105], v[98:99], s[46:47], v[2:3]
	v_fma_f64 v[98:99], v[98:99], s[52:53], v[2:3]
	v_add_f64 v[2:3], v[24:25], v[26:27]
	scratch_load_b64 v[26:27], off, off offset:456 ; 8-byte Folded Reload
	v_add_f64 v[106:107], v[106:107], v[110:111]
	v_mul_f64 v[110:111], v[108:109], s[28:29]
	scratch_load_b64 v[24:25], off, off offset:396 ; 8-byte Folded Reload
	v_add_f64 v[194:195], v[104:105], v[124:125]
	v_fma_f64 v[104:105], v[126:127], s[56:57], v[132:133]
	v_add_f64 v[188:189], v[98:99], v[96:97]
	v_mul_f64 v[98:99], v[108:109], s[40:41]
	v_mul_f64 v[118:119], v[2:3], s[50:51]
	v_fma_f64 v[96:97], v[126:127], s[24:25], v[110:111]
	v_fma_f64 v[36:37], v[126:127], s[26:27], v[110:111]
	v_mul_f64 v[110:111], v[108:109], s[12:13]
	v_add_f64 v[192:193], v[104:105], v[100:101]
	v_mul_f64 v[100:101], v[108:109], s[50:51]
	v_add_f64 v[104:105], v[128:129], -v[162:163]
	v_mul_f64 v[108:109], v[108:109], s[42:43]
	v_add_f64 v[182:183], v[96:97], v[46:47]
	v_fma_f64 v[96:97], v[126:127], s[34:35], v[98:99]
	v_add_f64 v[68:69], v[36:37], v[48:49]
	v_fma_f64 v[36:37], v[126:127], s[4:5], v[110:111]
	v_fma_f64 v[48:49], v[126:127], s[44:45], v[110:111]
	scratch_load_b64 v[128:129], off, off offset:332 ; 8-byte Folded Reload
	v_fma_f64 v[8:9], v[126:127], s[30:31], v[98:99]
	s_waitcnt vmcnt(3)
	v_add_f64 v[102:103], v[102:103], v[4:5]
	v_add_f64 v[46:47], v[4:5], v[112:113]
	scratch_load_b64 v[4:5], off, off offset:420 ; 8-byte Folded Reload
	v_fma_f64 v[110:111], v[126:127], s[52:53], v[100:101]
	v_fma_f64 v[100:101], v[126:127], s[46:47], v[100:101]
	v_fma_f64 v[180:181], v[126:127], s[38:39], v[108:109]
	v_fma_f64 v[178:179], v[126:127], s[36:37], v[108:109]
	v_add_f64 v[148:149], v[96:97], v[54:55]
	v_add_f64 v[108:109], v[198:199], -v[200:201]
	v_add_f64 v[162:163], v[48:49], v[62:63]
	v_add_f64 v[142:143], v[8:9], v[50:51]
	v_fma_f64 v[8:9], v[126:127], s[54:55], v[44:45]
	v_fma_f64 v[44:45], v[126:127], s[10:11], v[44:45]
	v_mul_f64 v[54:55], v[46:47], s[28:29]
	v_mul_f64 v[124:125], v[46:47], s[14:15]
	;; [unrolled: 1-line block ×4, first 2 shown]
	v_add_f64 v[172:173], v[110:111], v[64:65]
	v_add_f64 v[64:65], v[220:221], v[246:247]
	scratch_load_b64 v[220:221], off, off offset:404 ; 8-byte Folded Reload
	v_add_f64 v[176:177], v[100:101], v[58:59]
	v_mul_f64 v[58:59], v[46:47], s[20:21]
	v_add_f64 v[100:101], v[228:229], v[254:255]
	v_add_f64 v[178:179], v[178:179], v[188:189]
	;; [unrolled: 1-line block ×4, first 2 shown]
	v_fma_f64 v[200:201], v[104:105], s[26:27], v[54:55]
	v_fma_f64 v[198:199], v[104:105], s[24:25], v[54:55]
	v_add_f64 v[54:55], v[242:243], v[92:93]
	v_add_f64 v[92:93], v[224:225], v[250:251]
	scratch_load_b64 v[224:225], off, off offset:348 ; 8-byte Folded Reload
	v_fma_f64 v[96:97], v[104:105], s[54:55], v[124:125]
	v_fma_f64 v[202:203], v[104:105], s[10:11], v[124:125]
	;; [unrolled: 1-line block ×6, first 2 shown]
	v_add_f64 v[10:11], v[10:11], v[64:65]
	v_fma_f64 v[126:127], v[104:105], s[48:49], v[58:59]
	v_fma_f64 v[130:131], v[104:105], s[16:17], v[58:59]
	v_add_f64 v[100:101], v[152:153], v[100:101]
	v_add_f64 v[192:193], v[200:201], v[192:193]
	;; [unrolled: 1-line block ×8, first 2 shown]
	v_mul_f64 v[142:143], v[2:3], s[20:21]
	v_add_f64 v[62:63], v[62:63], v[174:175]
	v_add_f64 v[20:21], v[20:21], v[54:55]
	s_waitcnt vmcnt(5)
	v_add_f64 v[102:103], v[102:103], v[26:27]
	s_waitcnt vmcnt(4)
	v_add_f64 v[50:51], v[26:27], v[24:25]
	scratch_load_b64 v[26:27], off, off offset:488 ; 8-byte Folded Reload
	v_add_f64 v[102:103], v[102:103], v[140:141]
	v_mul_f64 v[58:59], v[50:51], s[28:29]
	v_mul_f64 v[44:45], v[50:51], s[42:43]
	;; [unrolled: 1-line block ×5, first 2 shown]
	v_fma_f64 v[206:207], v[108:109], s[24:25], v[58:59]
	v_fma_f64 v[168:169], v[108:109], s[36:37], v[44:45]
	;; [unrolled: 1-line block ×9, first 2 shown]
	s_waitcnt vmcnt(3)
	v_add_f64 v[102:103], v[102:103], v[4:5]
	v_add_f64 v[44:45], v[44:45], v[186:187]
	s_delay_alu instid0(VALU_DEP_2) | instskip(SKIP_3) | instid1(VALU_DEP_2)
	v_add_f64 v[102:103], v[102:103], v[128:129]
	s_waitcnt vmcnt(2)
	v_add_f64 v[140:141], v[140:141], v[220:221]
	s_waitcnt vmcnt(1)
	v_add_f64 v[102:103], v[102:103], v[224:225]
	s_delay_alu instid0(VALU_DEP_2)
	v_mul_f64 v[152:153], v[140:141], s[22:23]
	v_mul_f64 v[156:157], v[140:141], s[40:41]
	;; [unrolled: 1-line block ×5, first 2 shown]
	v_add_f64 v[74:75], v[102:103], v[218:219]
	v_fma_f64 v[102:103], v[108:109], s[26:27], v[58:59]
	s_clause 0x2
	scratch_load_b64 v[58:59], off, off offset:412
	scratch_load_b64 v[214:215], off, off offset:436
	;; [unrolled: 1-line block ×3, first 2 shown]
	v_add_f64 v[74:75], v[74:75], v[220:221]
	v_mul_f64 v[220:221], v[140:141], s[12:13]
	s_delay_alu instid0(VALU_DEP_2)
	v_add_f64 v[54:55], v[74:75], v[24:25]
	v_add_f64 v[74:75], v[130:131], v[162:163]
	v_fma_f64 v[130:131], v[0:1], s[46:47], v[118:119]
	s_waitcnt vmcnt(3)
	v_add_f64 v[98:99], v[28:29], v[26:27]
	v_add_f64 v[34:35], v[34:35], v[26:27]
	;; [unrolled: 1-line block ×5, first 2 shown]
	v_mul_f64 v[36:37], v[46:47], s[40:41]
	v_mul_f64 v[60:61], v[46:47], s[42:43]
	;; [unrolled: 1-line block ×4, first 2 shown]
	scratch_load_b64 v[222:223], off, off offset:48 ; 8-byte Folded Reload
	v_mul_f64 v[64:65], v[98:99], s[28:29]
	v_add_f64 v[34:35], v[34:35], v[154:155]
	v_mul_f64 v[154:155], v[98:99], s[42:43]
	v_add_f64 v[6:7], v[6:7], v[66:67]
	v_mul_f64 v[216:217], v[98:99], s[14:15]
	v_fma_f64 v[106:107], v[104:105], s[30:31], v[36:37]
	v_fma_f64 v[36:37], v[104:105], s[34:35], v[36:37]
	v_fma_f64 v[132:133], v[104:105], s[38:39], v[60:61]
	v_fma_f64 v[60:61], v[104:105], s[36:37], v[60:61]
	v_fma_f64 v[136:137], v[104:105], s[4:5], v[46:47]
	v_fma_f64 v[46:47], v[104:105], s[44:45], v[46:47]
	v_mul_f64 v[104:105], v[50:51], s[50:51]
	v_mul_f64 v[50:51], v[50:51], s[22:23]
	v_fma_f64 v[164:165], v[108:109], s[34:35], v[8:9]
	v_fma_f64 v[8:9], v[108:109], s[30:31], v[8:9]
	v_mul_f64 v[72:73], v[98:99], s[50:51]
	v_mul_f64 v[66:67], v[98:99], s[12:13]
	v_add_f64 v[84:85], v[134:135], v[26:27]
	v_mul_f64 v[134:135], v[2:3], s[42:43]
	v_fma_f64 v[198:199], v[70:71], s[26:27], v[64:65]
	v_add_f64 v[34:35], v[34:35], v[144:145]
	v_fma_f64 v[194:195], v[70:71], s[38:39], v[154:155]
	v_fma_f64 v[154:155], v[70:71], s[36:37], v[154:155]
	;; [unrolled: 1-line block ×3, first 2 shown]
	v_add_f64 v[106:107], v[106:107], v[182:183]
	v_fma_f64 v[216:217], v[70:71], s[10:11], v[216:217]
	v_fma_f64 v[64:65], v[70:71], s[24:25], v[64:65]
	v_add_f64 v[60:61], v[60:61], v[176:177]
	v_add_f64 v[36:37], v[36:37], v[68:69]
	v_add_f64 v[68:69], v[126:127], v[28:29]
	v_fma_f64 v[210:211], v[108:109], s[52:53], v[104:105]
	v_fma_f64 v[104:105], v[108:109], s[46:47], v[104:105]
	;; [unrolled: 1-line block ×4, first 2 shown]
	v_mul_f64 v[108:109], v[98:99], s[20:21]
	v_fma_f64 v[200:201], v[70:71], s[52:53], v[72:73]
	v_fma_f64 v[72:73], v[70:71], s[46:47], v[72:73]
	;; [unrolled: 1-line block ×4, first 2 shown]
	v_add_f64 v[82:83], v[132:133], v[172:173]
	v_add_f64 v[86:87], v[136:137], v[180:181]
	v_add_f64 v[46:47], v[46:47], v[178:179]
	v_add_f64 v[8:9], v[8:9], v[190:191]
	v_mul_f64 v[136:137], v[2:3], s[12:13]
	v_mul_f64 v[144:145], v[2:3], s[40:41]
	v_add_f64 v[32:33], v[194:195], v[32:33]
	v_add_f64 v[52:53], v[154:155], v[52:53]
	;; [unrolled: 1-line block ×4, first 2 shown]
	v_fma_f64 v[188:189], v[70:71], s[16:17], v[108:109]
	v_fma_f64 v[108:109], v[70:71], s[48:49], v[108:109]
	v_add_f64 v[46:47], v[50:51], v[46:47]
	v_fma_f64 v[154:155], v[0:1], s[30:31], v[144:145]
	s_waitcnt vmcnt(2)
	v_add_f64 v[214:215], v[58:59], -v[214:215]
	v_add_f64 v[58:59], v[4:5], v[218:219]
	scratch_load_b64 v[4:5], off, off offset:552 ; 8-byte Folded Reload
	s_waitcnt vmcnt(2)
	v_add_f64 v[10:11], v[12:13], v[10:11]
	v_add_f64 v[12:13], v[14:15], v[6:7]
	;; [unrolled: 1-line block ×3, first 2 shown]
	v_mul_f64 v[218:219], v[98:99], s[22:23]
	v_mul_f64 v[98:99], v[98:99], s[40:41]
	v_fma_f64 v[50:51], v[214:215], s[56:57], v[152:153]
	v_fma_f64 v[104:105], v[214:215], s[44:45], v[220:221]
	v_mul_f64 v[126:127], v[58:59], s[28:29]
	v_mul_f64 v[132:133], v[58:59], s[12:13]
	v_add_f64 v[10:11], v[184:185], v[10:11]
	v_add_f64 v[12:13], v[216:217], v[12:13]
	v_fma_f64 v[202:203], v[70:71], s[18:19], v[218:219]
	v_fma_f64 v[218:219], v[70:71], s[56:57], v[218:219]
	s_waitcnt vmcnt(0)
	v_add_f64 v[4:5], v[4:5], v[92:93]
	v_mul_f64 v[92:93], v[2:3], s[28:29]
	s_delay_alu instid0(VALU_DEP_2)
	v_add_f64 v[14:15], v[16:17], v[4:5]
	scratch_load_b64 v[4:5], off, off offset:592 ; 8-byte Folded Reload
	v_add_f64 v[16:17], v[18:19], v[94:95]
	v_add_f64 v[18:19], v[30:31], v[100:101]
	;; [unrolled: 1-line block ×5, first 2 shown]
	v_fma_f64 v[90:91], v[70:71], s[34:35], v[98:99]
	v_fma_f64 v[70:71], v[70:71], s[30:31], v[98:99]
	v_add_f64 v[98:99], v[170:171], v[106:107]
	v_fma_f64 v[106:107], v[214:215], s[4:5], v[220:221]
	v_mul_f64 v[88:89], v[140:141], s[20:21]
	v_add_f64 v[94:95], v[164:165], v[96:97]
	v_add_f64 v[96:97], v[168:169], v[192:193]
	v_fma_f64 v[100:101], v[214:215], s[10:11], v[160:161]
	v_fma_f64 v[120:121], v[0:1], s[26:27], v[92:93]
	;; [unrolled: 1-line block ×3, first 2 shown]
	v_add_f64 v[14:15], v[202:203], v[14:15]
	v_add_f64 v[16:17], v[218:219], v[16:17]
	;; [unrolled: 1-line block ×8, first 2 shown]
	v_fma_f64 v[74:75], v[214:215], s[34:35], v[156:157]
	v_fma_f64 v[86:87], v[214:215], s[36:37], v[150:151]
	v_mul_f64 v[124:125], v[58:59], s[50:51]
	v_add_f64 v[50:51], v[50:51], v[94:95]
	scratch_load_b64 v[38:39], off, off offset:32 ; 8-byte Folded Reload
	v_add_f64 v[120:121], v[120:121], v[32:33]
	v_add_f64 v[44:45], v[74:75], v[44:45]
	;; [unrolled: 1-line block ×3, first 2 shown]
	s_waitcnt vmcnt(1)
	v_add_f64 v[42:43], v[4:5], v[114:115]
	scratch_load_b64 v[4:5], off, off offset:40 ; 8-byte Folded Reload
	v_add_f64 v[34:35], v[34:35], v[222:223]
	v_mul_f64 v[222:223], v[140:141], s[28:29]
	v_add_f64 v[140:141], v[128:129], v[224:225]
	v_add_f64 v[26:27], v[182:183], v[42:43]
	;; [unrolled: 1-line block ×3, first 2 shown]
	v_fma_f64 v[68:69], v[214:215], s[18:19], v[152:153]
	v_fma_f64 v[108:109], v[214:215], s[26:27], v[222:223]
	;; [unrolled: 1-line block ×4, first 2 shown]
	v_mul_f64 v[148:149], v[140:141], s[40:41]
	v_fma_f64 v[152:153], v[0:1], s[34:35], v[144:145]
	v_add_f64 v[144:145], v[92:93], v[52:53]
	v_add_f64 v[42:43], v[100:101], v[42:43]
	;; [unrolled: 1-line block ×5, first 2 shown]
	v_fma_f64 v[110:111], v[0:1], s[52:53], v[118:119]
	v_fma_f64 v[118:119], v[0:1], s[36:37], v[134:135]
	s_waitcnt vmcnt(0)
	v_add_f64 v[34:35], v[34:35], v[4:5]
	scratch_load_b64 v[4:5], off, off offset:568 ; 8-byte Folded Reload
	v_add_f64 v[34:35], v[34:35], v[38:39]
	v_add_f64 v[38:39], v[204:205], v[56:57]
	;; [unrolled: 1-line block ×4, first 2 shown]
	v_fma_f64 v[84:85], v[214:215], s[38:39], v[150:151]
	v_mul_f64 v[138:139], v[2:3], s[22:23]
	v_mul_f64 v[2:3], v[2:3], s[14:15]
	v_fma_f64 v[150:151], v[0:1], s[16:17], v[142:143]
	v_fma_f64 v[142:143], v[0:1], s[48:49], v[142:143]
	v_add_f64 v[56:57], v[106:107], v[56:57]
	v_add_f64 v[60:61], v[108:109], v[60:61]
	;; [unrolled: 1-line block ×3, first 2 shown]
	s_delay_alu instid0(VALU_DEP_4)
	v_add_f64 v[92:93], v[142:143], v[24:25]
	s_waitcnt vmcnt(0)
	v_add_f64 v[76:77], v[4:5], v[76:77]
	scratch_load_b64 v[4:5], off, off offset:576 ; 8-byte Folded Reload
	v_add_f64 v[66:67], v[66:67], v[76:77]
	v_mul_f64 v[76:77], v[58:59], s[20:21]
	s_waitcnt vmcnt(0)
	v_add_f64 v[78:79], v[4:5], v[78:79]
	s_clause 0x4
	scratch_load_b64 v[4:5], off, off offset:584
	scratch_load_b64 v[114:115], off, off offset:372
	;; [unrolled: 1-line block ×5, first 2 shown]
	v_add_f64 v[78:79], v[90:91], v[78:79]
	v_mul_f64 v[90:91], v[58:59], s[14:15]
	s_waitcnt vmcnt(4)
	v_add_f64 v[28:29], v[4:5], v[80:81]
	v_add_f64 v[4:5], v[188:189], v[20:21]
	;; [unrolled: 1-line block ×5, first 2 shown]
	v_fma_f64 v[72:73], v[214:215], s[30:31], v[156:157]
	v_fma_f64 v[80:81], v[214:215], s[52:53], v[196:197]
	;; [unrolled: 1-line block ×5, first 2 shown]
	s_waitcnt vmcnt(2)
	v_add_f64 v[114:115], v[114:115], -v[116:117]
	v_mul_f64 v[116:117], v[58:59], s[42:43]
	s_waitcnt vmcnt(0)
	v_add_f64 v[106:107], v[106:107], -v[108:109]
	v_mul_f64 v[108:109], v[140:141], s[28:29]
	v_fma_f64 v[156:157], v[0:1], s[10:11], v[2:3]
	v_add_f64 v[28:29], v[70:71], v[28:29]
	v_mul_f64 v[70:71], v[58:59], s[22:23]
	v_mul_f64 v[58:59], v[58:59], s[40:41]
	v_add_f64 v[30:31], v[30:31], v[146:147]
	v_add_f64 v[54:55], v[104:105], v[54:55]
	;; [unrolled: 1-line block ×7, first 2 shown]
	v_fma_f64 v[82:83], v[114:115], s[16:17], v[76:77]
	v_fma_f64 v[74:75], v[114:115], s[38:39], v[116:117]
	;; [unrolled: 1-line block ×12, first 2 shown]
	v_mul_f64 v[112:113], v[140:141], s[50:51]
	v_mul_f64 v[116:117], v[140:141], s[42:43]
	;; [unrolled: 1-line block ×3, first 2 shown]
	v_fma_f64 v[126:127], v[0:1], s[4:5], v[136:137]
	v_mul_f64 v[132:133], v[140:141], s[22:23]
	v_fma_f64 v[146:147], v[0:1], s[56:57], v[138:139]
	v_fma_f64 v[138:139], v[0:1], s[18:19], v[138:139]
	v_add_f64 v[130:131], v[130:131], v[4:5]
	v_fma_f64 v[88:89], v[114:115], s[18:19], v[70:71]
	v_fma_f64 v[70:71], v[114:115], s[56:57], v[70:71]
	;; [unrolled: 1-line block ×6, first 2 shown]
	v_mul_f64 v[136:137], v[140:141], s[20:21]
	v_mul_f64 v[140:141], v[140:141], s[14:15]
	v_fma_f64 v[0:1], v[0:1], s[54:55], v[2:3]
	v_add_f64 v[2:3], v[30:31], v[158:159]
	v_add_f64 v[30:31], v[74:75], v[50:51]
	;; [unrolled: 1-line block ×6, first 2 shown]
	scratch_load_b64 v[84:85], off, off offset:16 ; 8-byte Folded Reload
	v_add_f64 v[42:43], v[90:91], v[42:43]
	v_add_f64 v[54:55], v[96:97], v[54:55]
	;; [unrolled: 1-line block ×5, first 2 shown]
	v_fma_f64 v[72:73], v[106:107], s[46:47], v[112:113]
	v_fma_f64 v[74:75], v[106:107], s[52:53], v[112:113]
	;; [unrolled: 1-line block ×9, first 2 shown]
	v_add_f64 v[90:91], v[138:139], v[20:21]
	v_add_f64 v[138:139], v[152:153], v[26:27]
	;; [unrolled: 1-line block ×11, first 2 shown]
	v_fma_f64 v[58:59], v[106:107], s[26:27], v[108:109]
	v_fma_f64 v[70:71], v[106:107], s[24:25], v[108:109]
	v_fma_f64 v[102:103], v[106:107], s[16:17], v[136:137]
	v_fma_f64 v[104:105], v[106:107], s[48:49], v[136:137]
	v_fma_f64 v[108:109], v[106:107], s[34:35], v[148:149]
	v_fma_f64 v[124:125], v[106:107], s[10:11], v[140:141]
	v_fma_f64 v[106:107], v[106:107], s[54:55], v[140:141]
	v_add_f64 v[140:141], v[156:157], v[78:79]
	v_add_f64 v[156:157], v[0:1], v[28:29]
	scratch_load_b64 v[0:1], off, off offset:616 ; 8-byte Folded Reload
	s_waitcnt vmcnt(0) lgkmcnt(0)
	s_waitcnt_vscnt null, 0x0
	s_barrier
	buffer_gl0_inv
	v_add_f64 v[88:89], v[134:135], v[16:17]
	v_add_f64 v[134:135], v[146:147], v[18:19]
	;; [unrolled: 1-line block ×23, first 2 shown]
	scratch_load_b32 v3, off, off offset:56 ; 4-byte Folded Reload
	v_add_nc_u32_e32 v0, 0x800, v244
	v_add_nc_u32_e32 v1, 0x400, v244
	s_waitcnt vmcnt(0)
	ds_load_b64 v[112:113], v3
	ds_load_2addr_b64 v[12:15], v244 offset0:119 offset1:136
	ds_load_2addr_b64 v[52:55], v244 offset0:221 offset1:238
	;; [unrolled: 1-line block ×7, first 2 shown]
	v_add_nc_u32_e32 v1, 0x1000, v244
	ds_load_2addr_b64 v[28:31], v244 offset0:153 offset1:170
	ds_load_2addr_b64 v[32:35], v0 offset0:135 offset1:152
	;; [unrolled: 1-line block ×10, first 2 shown]
	s_waitcnt lgkmcnt(0)
	s_barrier
	buffer_gl0_inv
	ds_store_2addr_b64 v122, v[132:133], v[120:121] offset1:7
	ds_store_2addr_b64 v122, v[130:131], v[110:111] offset0:14 offset1:21
	ds_store_2addr_b64 v122, v[126:127], v[134:135] offset0:28 offset1:35
	;; [unrolled: 1-line block ×7, first 2 shown]
	ds_store_b64 v122, v[144:145] offset:896
	ds_store_2addr_b64 v123, v[152:153], v[154:155] offset1:7
	ds_store_2addr_b64 v123, v[148:149], v[150:151] offset0:14 offset1:21
	ds_store_2addr_b64 v123, v[142:143], v[146:147] offset0:28 offset1:35
	;; [unrolled: 1-line block ×7, first 2 shown]
	ds_store_b64 v123, v[114:115] offset:896
	s_and_saveexec_b32 s33, s0
	s_cbranch_execz .LBB0_20
; %bb.19:
	s_clause 0xb
	scratch_load_b64 v[70:71], off, off offset:300
	scratch_load_b64 v[128:129], off, off offset:340
	;; [unrolled: 1-line block ×12, first 2 shown]
	s_mov_b32 s38, 0x370991
	s_mov_b32 s24, 0x75d4884
	s_mov_b32 s28, 0x2b2883cd
	s_mov_b32 s39, 0x3fedd6d0
	s_mov_b32 s25, 0x3fe7a5f6
	s_mov_b32 s29, 0x3fdc86fa
	s_mov_b32 s30, 0x3259b75e
	s_mov_b32 s31, 0x3fb79ee6
	s_mov_b32 s42, 0x6ed5f1bb
	s_mov_b32 s52, 0x910ea3b9
	s_mov_b32 s43, 0xbfe348c8
	s_mov_b32 s53, 0xbfeb34fa
	s_mov_b32 s54, 0x7faef3
	s_mov_b32 s55, 0xbfef7484
	s_mov_b32 s0, 0x5d8e7cdc
	s_mov_b32 s10, 0x2a9d6da3
	s_mov_b32 s14, 0x7c9e640b
	s_mov_b32 s1, 0x3fd71e95
	s_mov_b32 s11, 0x3fe58eea
	s_mov_b32 s13, 0xbfe58eea
	s_mov_b32 s15, 0x3feca52d
	s_mov_b32 s18, 0xeb564b22
	s_mov_b32 s22, 0x923c349f
	s_mov_b32 s12, s10
	s_mov_b32 s19, 0x3fefdd0d
	s_mov_b32 s21, 0xbfefdd0d
	s_mov_b32 s23, 0x3feec746
	s_mov_b32 s34, 0x6c9a05f6
	s_mov_b32 s44, 0x4363dd80
	s_mov_b32 s20, s18
	s_mov_b32 s35, 0x3fe9895b
	s_mov_b32 s37, 0xbfe9895b
	s_mov_b32 s45, 0x3fe0d888
	s_mov_b32 s48, 0xacd6c6b4
	s_mov_b32 s36, s34
	s_mov_b32 s49, 0x3fc7851a
	s_mov_b32 s51, 0xbfc7851a
	s_mov_b32 s50, s48
	s_mov_b32 s47, 0xbfe0d888
	s_mov_b32 s46, s44
	s_mov_b32 s27, 0xbfeec746
	s_mov_b32 s26, s22
	s_mov_b32 s17, 0xbfeca52d
	s_mov_b32 s16, s14
	s_mov_b32 s5, 0xbfd71e95
	s_mov_b32 s4, s0
	s_waitcnt vmcnt(10)
	v_add_f64 v[68:69], v[128:129], v[70:71]
	s_waitcnt vmcnt(5)
	v_add_f64 v[70:71], v[70:71], v[0:1]
	s_waitcnt vmcnt(3)
	v_add_f64 v[72:73], v[72:73], -v[78:79]
	s_clause 0x1
	scratch_load_b64 v[78:79], off, off offset:236
	scratch_load_b64 v[80:81], off, off offset:284
	v_add_f64 v[68:69], v[68:69], v[74:75]
	s_waitcnt vmcnt(4)
	v_add_f64 v[74:75], v[74:75], v[226:227]
	v_mul_f64 v[104:105], v[70:71], s[24:25]
	v_mul_f64 v[106:107], v[70:71], s[28:29]
	;; [unrolled: 1-line block ×6, first 2 shown]
	v_add_f64 v[68:69], v[68:69], v[76:77]
	s_waitcnt vmcnt(3)
	v_add_f64 v[76:77], v[76:77], v[228:229]
	v_mul_f64 v[118:119], v[74:75], s[24:25]
	v_mul_f64 v[120:121], v[74:75], s[30:31]
	;; [unrolled: 1-line block ×6, first 2 shown]
	v_fma_f64 v[168:169], v[72:73], s[10:11], v[104:105]
	v_fma_f64 v[104:105], v[72:73], s[12:13], v[104:105]
	;; [unrolled: 1-line block ×12, first 2 shown]
	v_add_f64 v[68:69], v[68:69], v[82:83]
	v_mul_f64 v[134:135], v[76:77], s[28:29]
	v_mul_f64 v[136:137], v[76:77], s[42:43]
	;; [unrolled: 1-line block ×8, first 2 shown]
	v_add_f64 v[104:105], v[128:129], v[104:105]
	v_add_f64 v[108:109], v[128:129], v[108:109]
	;; [unrolled: 1-line block ×7, first 2 shown]
	s_waitcnt vmcnt(2)
	s_delay_alu instid0(VALU_DEP_1)
	v_add_f64 v[68:69], v[68:69], v[90:91]
	s_waitcnt vmcnt(0)
	v_add_f64 v[78:79], v[78:79], -v[80:81]
	s_clause 0x2
	scratch_load_b64 v[80:81], off, off offset:244
	scratch_load_b64 v[84:85], off, off offset:276
	scratch_load_b64 v[230:231], off, off offset:84
	v_fma_f64 v[190:191], v[78:79], s[10:11], v[118:119]
	v_fma_f64 v[118:119], v[78:79], s[12:13], v[118:119]
	;; [unrolled: 1-line block ×12, first 2 shown]
	v_add_f64 v[104:105], v[120:121], v[104:105]
	v_add_f64 v[106:107], v[122:123], v[106:107]
	;; [unrolled: 1-line block ×4, first 2 shown]
	s_waitcnt vmcnt(1)
	v_add_f64 v[80:81], v[80:81], -v[84:85]
	s_clause 0x2
	scratch_load_b64 v[84:85], off, off offset:220
	scratch_load_b64 v[88:89], off, off offset:260
	;; [unrolled: 1-line block ×3, first 2 shown]
	s_waitcnt vmcnt(3)
	v_add_f64 v[82:83], v[82:83], v[230:231]
	v_fma_f64 v[210:211], v[80:81], s[14:15], v[134:135]
	v_fma_f64 v[134:135], v[80:81], s[16:17], v[134:135]
	;; [unrolled: 1-line block ×3, first 2 shown]
	s_delay_alu instid0(VALU_DEP_4)
	v_mul_f64 v[148:149], v[82:83], s[30:31]
	v_mul_f64 v[150:151], v[82:83], s[54:55]
	;; [unrolled: 1-line block ×8, first 2 shown]
	v_fma_f64 v[136:137], v[80:81], s[36:37], v[136:137]
	v_fma_f64 v[214:215], v[80:81], s[50:51], v[138:139]
	;; [unrolled: 1-line block ×13, first 2 shown]
	v_add_f64 v[106:107], v[138:139], v[106:107]
	v_add_f64 v[108:109], v[140:141], v[108:109]
	;; [unrolled: 1-line block ×3, first 2 shown]
	s_waitcnt vmcnt(1)
	v_add_f64 v[84:85], v[84:85], -v[88:89]
	s_clause 0x2
	scratch_load_b64 v[88:89], off, off offset:196
	scratch_load_b64 v[92:93], off, off offset:212
	;; [unrolled: 1-line block ×3, first 2 shown]
	s_waitcnt vmcnt(3)
	v_add_f64 v[86:87], v[86:87], v[232:233]
	s_delay_alu instid0(VALU_DEP_1)
	v_mul_f64 v[162:163], v[86:87], s[40:41]
	v_mul_f64 v[164:165], v[86:87], s[52:53]
	;; [unrolled: 1-line block ×5, first 2 shown]
	s_waitcnt vmcnt(1)
	v_add_f64 v[88:89], v[88:89], -v[92:93]
	s_clause 0x9
	scratch_load_b64 v[92:93], off, off offset:172
	scratch_load_b64 v[94:95], off, off offset:188
	;; [unrolled: 1-line block ×10, first 2 shown]
	s_waitcnt vmcnt(10)
	v_add_f64 v[90:91], v[90:91], v[238:239]
	s_delay_alu instid0(VALU_DEP_1)
	v_mul_f64 v[208:209], v[90:91], s[52:53]
	v_mul_f64 v[122:123], v[90:91], s[54:55]
	s_waitcnt vmcnt(8)
	v_add_f64 v[92:93], v[92:93], -v[94:95]
	s_waitcnt vmcnt(6)
	v_add_f64 v[68:69], v[68:69], v[126:127]
	v_add_f64 v[94:95], v[126:127], v[240:241]
	v_mul_f64 v[126:127], v[74:75], s[52:53]
	s_waitcnt vmcnt(0)
	v_add_f64 v[100:101], v[100:101], -v[102:103]
	v_mul_f64 v[102:103], v[70:71], s[38:39]
	v_mul_f64 v[70:71], v[70:71], s[54:55]
	;; [unrolled: 1-line block ×3, first 2 shown]
	v_add_f64 v[96:97], v[96:97], -v[98:99]
	v_add_f64 v[98:99], v[182:183], v[206:207]
	v_add_f64 v[68:69], v[68:69], v[182:183]
	v_mul_f64 v[182:183], v[86:87], s[28:29]
	v_fma_f64 v[198:199], v[78:79], s[46:47], v[126:127]
	v_fma_f64 v[126:127], v[78:79], s[44:45], v[126:127]
	;; [unrolled: 1-line block ×8, first 2 shown]
	v_mul_f64 v[102:103], v[86:87], s[24:25]
	v_mul_f64 v[86:87], v[86:87], s[42:43]
	;; [unrolled: 1-line block ×4, first 2 shown]
	v_add_f64 v[68:69], v[68:69], v[206:207]
	v_mul_f64 v[206:207], v[90:91], s[38:39]
	v_add_f64 v[110:111], v[126:127], v[110:111]
	v_add_f64 v[78:79], v[128:129], v[166:167]
	;; [unrolled: 1-line block ×11, first 2 shown]
	v_mul_f64 v[180:181], v[90:91], s[40:41]
	v_mul_f64 v[128:129], v[90:91], s[42:43]
	;; [unrolled: 1-line block ×3, first 2 shown]
	v_add_f64 v[68:69], v[68:69], v[240:241]
	v_add_f64 v[78:79], v[190:191], v[78:79]
	;; [unrolled: 1-line block ×12, first 2 shown]
	v_fma_f64 v[132:133], v[84:85], s[18:19], v[148:149]
	v_fma_f64 v[148:149], v[84:85], s[20:21], v[148:149]
	;; [unrolled: 1-line block ×16, first 2 shown]
	v_add_f64 v[84:85], v[136:137], v[104:105]
	v_fma_f64 v[196:197], v[88:89], s[48:49], v[184:185]
	v_fma_f64 v[184:185], v[88:89], s[50:51], v[184:185]
	;; [unrolled: 1-line block ×6, first 2 shown]
	v_add_f64 v[68:69], v[68:69], v[238:239]
	v_fma_f64 v[202:203], v[88:89], s[34:35], v[86:87]
	v_fma_f64 v[86:87], v[88:89], s[36:37], v[86:87]
	v_mul_f64 v[116:117], v[90:91], s[30:31]
	v_add_f64 v[78:79], v[210:211], v[78:79]
	v_add_f64 v[80:81], v[212:213], v[80:81]
	;; [unrolled: 1-line block ×12, first 2 shown]
	v_fma_f64 v[146:147], v[88:89], s[22:23], v[162:163]
	v_fma_f64 v[162:163], v[88:89], s[26:27], v[162:163]
	;; [unrolled: 1-line block ×8, first 2 shown]
	v_mul_f64 v[118:119], v[90:91], s[24:25]
	v_mul_f64 v[90:91], v[90:91], s[28:29]
	v_add_f64 v[108:109], v[154:155], v[108:109]
	v_add_f64 v[114:115], v[158:159], v[114:115]
	v_mul_f64 v[110:111], v[94:95], s[28:29]
	v_mul_f64 v[134:135], v[94:95], s[30:31]
	;; [unrolled: 1-line block ×3, first 2 shown]
	v_add_f64 v[84:85], v[150:151], v[84:85]
	v_fma_f64 v[150:151], v[92:93], s[34:35], v[128:129]
	v_fma_f64 v[128:129], v[92:93], s[36:37], v[128:129]
	;; [unrolled: 1-line block ×4, first 2 shown]
	v_add_f64 v[68:69], v[68:69], v[232:233]
	v_add_f64 v[78:79], v[132:133], v[78:79]
	;; [unrolled: 1-line block ×14, first 2 shown]
	v_fma_f64 v[152:153], v[92:93], s[26:27], v[180:181]
	v_fma_f64 v[156:157], v[92:93], s[0:1], v[206:207]
	v_mul_f64 v[106:107], v[94:95], s[24:25]
	v_mul_f64 v[94:95], v[94:95], s[40:41]
	v_fma_f64 v[160:161], v[92:93], s[44:45], v[208:209]
	v_fma_f64 v[172:173], v[92:93], s[46:47], v[208:209]
	;; [unrolled: 1-line block ×10, first 2 shown]
	v_add_f64 v[84:85], v[164:165], v[84:85]
	v_add_f64 v[114:115], v[186:187], v[114:115]
	v_mul_f64 v[140:141], v[98:99], s[38:39]
	v_mul_f64 v[148:149], v[98:99], s[52:53]
	v_fma_f64 v[164:165], v[96:97], s[16:17], v[110:111]
	v_mul_f64 v[136:137], v[98:99], s[54:55]
	v_fma_f64 v[110:111], v[96:97], s[14:15], v[110:111]
	v_add_f64 v[68:69], v[68:69], v[230:231]
	v_add_f64 v[78:79], v[146:147], v[78:79]
	;; [unrolled: 1-line block ×15, first 2 shown]
	v_fma_f64 v[166:167], v[96:97], s[18:19], v[134:135]
	v_mul_f64 v[86:87], v[98:99], s[24:25]
	v_mul_f64 v[102:103], v[98:99], s[42:43]
	;; [unrolled: 1-line block ×5, first 2 shown]
	v_fma_f64 v[162:163], v[96:97], s[44:45], v[126:127]
	v_fma_f64 v[126:127], v[96:97], s[46:47], v[126:127]
	;; [unrolled: 1-line block ×13, first 2 shown]
	v_add_f64 v[84:85], v[154:155], v[84:85]
	v_add_f64 v[68:69], v[68:69], v[228:229]
	;; [unrolled: 1-line block ×17, first 2 shown]
	v_fma_f64 v[122:123], v[100:101], s[4:5], v[140:141]
	v_fma_f64 v[128:129], v[100:101], s[44:45], v[148:149]
	;; [unrolled: 1-line block ×16, first 2 shown]
	v_add_f64 v[84:85], v[110:111], v[84:85]
	v_add_f64 v[68:69], v[68:69], v[226:227]
	;; [unrolled: 1-line block ×19, first 2 shown]
	s_clause 0x1
	scratch_load_b32 v0, off, off
	scratch_load_b32 v1, off, off offset:444
	v_add_f64 v[78:79], v[90:91], v[78:79]
	v_add_f64 v[80:81], v[122:123], v[80:81]
	;; [unrolled: 1-line block ×15, first 2 shown]
	s_waitcnt vmcnt(0)
	v_add3_u32 v0, 0, v1, v0
	s_delay_alu instid0(VALU_DEP_1)
	v_add_nc_u32_e32 v1, 0x800, v0
	v_add_nc_u32_e32 v2, 0x1000, v0
	ds_store_2addr_b64 v1, v[80:81], v[88:89] offset0:234 offset1:241
	ds_store_2addr_b64 v1, v[90:91], v[92:93] offset0:248 offset1:255
	;; [unrolled: 1-line block ×8, first 2 shown]
	ds_store_b64 v0, v[72:73] offset:4704
.LBB0_20:
	s_or_b32 exec_lo, exec_lo, s33
	s_waitcnt lgkmcnt(0)
	s_barrier
	buffer_gl0_inv
	s_and_saveexec_b32 s0, vcc_lo
	s_cbranch_execz .LBB0_22
; %bb.21:
	scratch_load_b32 v233, off, off offset:624 ; 4-byte Folded Reload
	v_add_nc_u32_e32 v1, 0x1000, v244
	v_add_nc_u32_e32 v2, 0x400, v244
	s_mov_b32 s5, 0xbfee6f0e
	s_mov_b32 s1, 0x3fe2cf23
	v_mov_b32_e32 v69, 0
	s_waitcnt vmcnt(0)
	s_delay_alu instid0(VALU_DEP_1) | instskip(NEXT) | instid1(VALU_DEP_1)
	v_dual_mov_b32 v71, v69 :: v_dual_lshlrev_b32 v70, 2, v233
	v_add_nc_u32_e32 v68, 0x198, v70
	s_delay_alu instid0(VALU_DEP_2) | instskip(NEXT) | instid1(VALU_DEP_2)
	v_lshlrev_b64 v[74:75], 4, v[70:71]
	v_lshlrev_b64 v[72:73], 4, v[68:69]
	v_add_nc_u32_e32 v68, 0x154, v70
	s_delay_alu instid0(VALU_DEP_1) | instskip(SKIP_1) | instid1(VALU_DEP_4)
	v_lshlrev_b64 v[87:88], 4, v[68:69]
	v_add_nc_u32_e32 v68, 0x110, v70
	v_add_co_u32 v95, vcc_lo, s8, v72
	v_add_co_ci_u32_e32 v96, vcc_lo, s9, v73, vcc_lo
	v_add_co_u32 v122, vcc_lo, s8, v74
	s_delay_alu instid0(VALU_DEP_4) | instskip(SKIP_3) | instid1(VALU_DEP_4)
	v_lshlrev_b64 v[107:108], 4, v[68:69]
	v_add_co_ci_u32_e32 v123, vcc_lo, s9, v75, vcc_lo
	v_add_co_u32 v114, vcc_lo, s8, v87
	v_add_co_ci_u32_e32 v115, vcc_lo, s9, v88, vcc_lo
	v_add_co_u32 v137, vcc_lo, s8, v107
	v_add_co_ci_u32_e32 v138, vcc_lo, s9, v108, vcc_lo
	s_clause 0xd
	global_load_b128 v[71:74], v[95:96], off offset:1792
	global_load_b128 v[75:78], v[122:123], off offset:1808
	;; [unrolled: 1-line block ×14, first 2 shown]
	scratch_load_b32 v0, off, off offset:632 ; 4-byte Folded Reload
	v_add_nc_u32_e32 v68, 0xcc, v70
	global_load_b128 v[133:136], v[137:138], off offset:1808
	v_lshlrev_b64 v[139:140], 4, v[68:69]
	s_delay_alu instid0(VALU_DEP_1) | instskip(NEXT) | instid1(VALU_DEP_2)
	v_add_co_u32 v122, vcc_lo, s8, v139
	v_add_co_ci_u32_e32 v123, vcc_lo, s9, v140, vcc_lo
	s_waitcnt vmcnt(13)
	v_mul_f64 v[219:220], v[48:49], v[81:82]
	v_mul_f64 v[217:218], v[54:55], v[77:78]
	s_waitcnt vmcnt(12)
	v_mul_f64 v[221:222], v[50:51], v[85:86]
	s_waitcnt vmcnt(11)
	;; [unrolled: 2-line block ×5, first 2 shown]
	v_lshlrev_b32_e32 v68, 2, v0
	global_load_b128 v[137:140], v[137:138], off offset:1840
	scratch_load_b32 v0, off, off offset:628 ; 4-byte Folded Reload
	s_clause 0x3
	global_load_b128 v[141:144], v[122:123], off offset:1808
	global_load_b128 v[145:148], v[122:123], off offset:1792
	;; [unrolled: 1-line block ×4, first 2 shown]
	v_mul_f64 v[229:230], v[60:61], v[101:102]
	v_mul_f64 v[231:232], v[58:59], v[105:106]
	v_lshlrev_b64 v[157:158], 4, v[68:69]
	v_mul_f64 v[238:239], v[56:57], v[109:110]
	s_delay_alu instid0(VALU_DEP_2) | instskip(NEXT) | instid1(VALU_DEP_3)
	v_add_co_u32 v122, vcc_lo, s8, v157
	v_add_co_ci_u32_e32 v123, vcc_lo, s9, v158, vcc_lo
	s_clause 0x3
	global_load_b128 v[157:160], v[122:123], off offset:1808
	global_load_b128 v[161:164], v[122:123], off offset:1792
	;; [unrolled: 1-line block ×4, first 2 shown]
	s_waitcnt vmcnt(8)
	v_lshlrev_b32_e32 v68, 2, v0
	v_add_nc_u32_e32 v0, 0x800, v244
	s_delay_alu instid0(VALU_DEP_2) | instskip(SKIP_1) | instid1(VALU_DEP_2)
	v_lshlrev_b64 v[173:174], 4, v[68:69]
	v_mov_b32_e32 v68, v3
	v_add_co_u32 v122, vcc_lo, s8, v173
	s_delay_alu instid0(VALU_DEP_3)
	v_add_co_ci_u32_e32 v123, vcc_lo, s9, v174, vcc_lo
	s_clause 0x3
	global_load_b128 v[173:176], v[122:123], off offset:1808
	global_load_b128 v[177:180], v[122:123], off offset:1792
	;; [unrolled: 1-line block ×4, first 2 shown]
	ds_load_2addr_b64 v[189:192], v244 offset0:221 offset1:238
	ds_load_2addr_b64 v[193:196], v0 offset0:203 offset1:220
	v_mul_f64 v[122:123], v[52:53], v[73:74]
	ds_load_2addr_b64 v[197:200], v0 offset0:67 offset1:84
	ds_load_2addr_b64 v[201:204], v1 offset0:49 offset1:66
	;; [unrolled: 1-line block ×5, first 2 shown]
	s_mov_b32 s8, 0x134454ff
	s_mov_b32 s9, 0x3fee6f0e
	;; [unrolled: 1-line block ×3, first 2 shown]
	s_waitcnt lgkmcnt(6)
	v_mul_f64 v[73:74], v[189:190], v[73:74]
	v_mul_f64 v[77:78], v[191:192], v[77:78]
	s_waitcnt lgkmcnt(5)
	v_mul_f64 v[81:82], v[193:194], v[81:82]
	s_waitcnt lgkmcnt(4)
	v_mul_f64 v[89:90], v[199:200], v[89:90]
	v_mul_f64 v[93:94], v[197:198], v[93:94]
	s_waitcnt lgkmcnt(3)
	v_mul_f64 v[97:98], v[203:204], v[97:98]
	v_mul_f64 v[85:86], v[195:196], v[85:86]
	v_fma_f64 v[191:192], v[191:192], v[75:76], -v[217:218]
	v_fma_f64 v[193:194], v[193:194], v[79:80], -v[219:220]
	v_mul_f64 v[101:102], v[201:202], v[101:102]
	s_waitcnt lgkmcnt(2)
	v_mul_f64 v[105:106], v[207:208], v[105:106]
	v_mul_f64 v[109:110], v[205:206], v[109:110]
	v_fma_f64 v[199:200], v[199:200], v[87:88], -v[223:224]
	v_fma_f64 v[197:198], v[197:198], v[91:92], -v[225:226]
	;; [unrolled: 1-line block ×3, first 2 shown]
	s_waitcnt vmcnt(10)
	v_mul_f64 v[225:226], v[30:31], v[147:148]
	v_fma_f64 v[207:208], v[207:208], v[103:104], -v[231:232]
	v_fma_f64 v[205:206], v[205:206], v[107:108], -v[238:239]
	;; [unrolled: 1-line block ×3, first 2 shown]
	v_fma_f64 v[189:190], v[52:53], v[71:72], v[73:74]
	v_fma_f64 v[217:218], v[54:55], v[75:76], v[77:78]
	ds_load_2addr_b64 v[52:55], v0 offset0:101 offset1:118
	v_fma_f64 v[219:220], v[48:49], v[79:80], v[81:82]
	ds_load_2addr_b64 v[74:77], v244 offset0:119 offset1:136
	ds_load_2addr_b64 v[78:81], v0 offset0:33 offset1:50
	v_fma_f64 v[70:71], v[195:196], v[83:84], -v[221:222]
	v_mul_f64 v[195:196], v[46:47], v[116:117]
	s_waitcnt lgkmcnt(4)
	v_mul_f64 v[116:117], v[211:212], v[116:117]
	v_mul_f64 v[221:222], v[44:45], v[120:121]
	v_fma_f64 v[223:224], v[66:67], v[87:88], v[89:90]
	v_mul_f64 v[120:121], v[209:210], v[120:121]
	v_fma_f64 v[90:91], v[64:65], v[91:92], v[93:94]
	;; [unrolled: 2-line block ×4, first 2 shown]
	ds_load_2addr_b64 v[48:51], v1 offset0:15 offset1:32
	ds_load_2addr_b64 v[82:85], v0 offset0:135 offset1:152
	;; [unrolled: 1-line block ×4, first 2 shown]
	v_fma_f64 v[60:61], v[60:61], v[99:100], v[101:102]
	v_fma_f64 v[58:59], v[58:59], v[103:104], v[105:106]
	s_waitcnt lgkmcnt(6)
	v_mul_f64 v[127:128], v[52:53], v[127:128]
	s_waitcnt vmcnt(8)
	v_mul_f64 v[102:103], v[34:35], v[155:156]
	s_waitcnt lgkmcnt(5)
	v_mul_f64 v[96:97], v[74:75], v[131:132]
	v_fma_f64 v[131:132], v[201:202], v[99:100], -v[229:230]
	v_mul_f64 v[201:202], v[42:43], v[135:136]
	s_waitcnt lgkmcnt(4)
	v_mul_f64 v[135:136], v[80:81], v[135:136]
	v_mul_f64 v[98:99], v[38:39], v[139:140]
	;; [unrolled: 1-line block ×3, first 2 shown]
	v_fma_f64 v[106:107], v[56:57], v[107:108], v[109:110]
	v_mul_f64 v[108:109], v[215:216], v[147:148]
	s_waitcnt vmcnt(7)
	v_mul_f64 v[147:148], v[26:27], v[159:160]
	v_mul_lo_u32 v0, s3, v236
	v_mul_lo_u32 v1, s2, v237
	v_mad_u64_u32 v[56:57], null, s2, v236, 0
	s_waitcnt lgkmcnt(3)
	v_mul_f64 v[100:101], v[50:51], v[139:140]
	v_mul_f64 v[139:140], v[40:41], v[143:144]
	;; [unrolled: 1-line block ×3, first 2 shown]
	s_waitcnt lgkmcnt(2)
	v_mul_f64 v[155:156], v[84:85], v[155:156]
	v_mul_f64 v[110:111], v[48:49], v[151:152]
	s_waitcnt vmcnt(6)
	v_mul_f64 v[151:152], v[28:29], v[163:164]
	s_waitcnt lgkmcnt(1)
	v_mul_f64 v[159:160], v[88:89], v[159:160]
	v_add3_u32 v57, v57, v1, v0
	v_fma_f64 v[195:196], v[211:212], v[114:115], -v[195:196]
	v_fma_f64 v[114:115], v[46:47], v[114:115], v[116:117]
	s_waitcnt vmcnt(4)
	v_mul_f64 v[116:117], v[32:33], v[171:172]
	v_fma_f64 v[209:210], v[209:210], v[118:119], -v[221:222]
	v_fma_f64 v[118:119], v[44:45], v[118:119], v[120:121]
	v_mul_f64 v[120:121], v[213:214], v[163:164]
	s_waitcnt lgkmcnt(0)
	v_mul_f64 v[163:164], v[66:67], v[167:168]
	v_fma_f64 v[92:93], v[52:53], v[125:126], -v[92:93]
	v_fma_f64 v[74:75], v[74:75], v[129:130], -v[94:95]
	v_mul_f64 v[211:212], v[22:23], v[167:168]
	v_mul_f64 v[171:172], v[82:83], v[171:172]
	s_mov_b32 s2, 0x4755a5e
	s_mov_b32 s3, 0xbfe2cf23
	;; [unrolled: 1-line block ×3, first 2 shown]
	v_add_f64 v[231:232], v[58:59], -v[60:61]
	v_fma_f64 v[16:17], v[16:17], v[125:126], v[127:128]
	v_fma_f64 v[84:85], v[84:85], v[153:154], -v[102:103]
	v_fma_f64 v[12:13], v[12:13], v[129:130], v[96:97]
	v_add_f64 v[246:247], v[60:61], -v[58:59]
	v_fma_f64 v[80:81], v[80:81], v[133:134], -v[201:202]
	v_fma_f64 v[128:129], v[42:43], v[133:134], v[135:136]
	v_fma_f64 v[98:99], v[50:51], v[137:138], -v[98:99]
	ds_load_2addr_b64 v[42:45], v244 offset0:85 offset1:102
	v_fma_f64 v[30:31], v[30:31], v[145:146], v[108:109]
	v_fma_f64 v[88:89], v[88:89], v[157:158], -v[147:148]
	v_fma_f64 v[38:39], v[38:39], v[137:138], v[100:101]
	v_fma_f64 v[78:79], v[78:79], v[141:142], -v[139:140]
	v_fma_f64 v[100:101], v[48:49], v[149:150], -v[104:105]
	;; [unrolled: 1-line block ×3, first 2 shown]
	v_fma_f64 v[40:41], v[40:41], v[141:142], v[143:144]
	v_fma_f64 v[34:35], v[34:35], v[153:154], v[155:156]
	;; [unrolled: 1-line block ×3, first 2 shown]
	v_fma_f64 v[102:103], v[213:214], v[161:162], -v[151:152]
	v_add_f64 v[110:111], v[203:204], -v[193:194]
	v_add_f64 v[137:138], v[189:190], -v[223:224]
	v_fma_f64 v[82:83], v[82:83], v[169:170], -v[116:117]
	v_add_f64 v[139:140], v[62:63], -v[219:220]
	v_add_f64 v[141:142], v[223:224], v[219:220]
	v_fma_f64 v[28:29], v[28:29], v[161:162], v[120:121]
	v_fma_f64 v[22:23], v[22:23], v[165:166], v[163:164]
	v_add_f64 v[120:121], v[199:200], v[193:194]
	v_add_f64 v[145:146], v[191:192], -v[74:75]
	v_add_f64 v[147:148], v[92:93], -v[70:71]
	v_add_f64 v[151:152], v[195:196], v[131:132]
	v_add_f64 v[153:154], v[197:198], v[207:208]
	;; [unrolled: 1-line block ×3, first 2 shown]
	ds_load_2addr_b64 v[46:49], v244 offset0:51 offset1:68
	ds_load_2addr_b64 v[50:53], v244 offset0:17 offset1:34
	v_fma_f64 v[66:67], v[66:67], v[165:166], -v[211:212]
	v_fma_f64 v[26:27], v[26:27], v[157:158], v[159:160]
	v_fma_f64 v[32:33], v[32:33], v[169:170], v[171:172]
	v_add_f64 v[143:144], v[10:11], v[189:190]
	v_add_f64 v[149:150], v[74:75], -v[191:192]
	v_add_f64 v[155:156], v[70:71], -v[92:93]
	;; [unrolled: 1-line block ×5, first 2 shown]
	v_add_f64 v[165:166], v[90:91], v[58:59]
	v_add_f64 v[169:170], v[197:198], -v[195:196]
	v_add_f64 v[171:172], v[209:210], v[98:99]
	v_add_f64 v[211:212], v[131:132], -v[207:208]
	s_waitcnt lgkmcnt(2)
	v_add_f64 v[213:214], v[195:196], v[42:43]
	v_add_f64 v[229:230], v[90:91], -v[114:115]
	v_add_f64 v[244:245], v[114:115], -v[90:91]
	v_add_f64 v[250:251], v[80:81], -v[209:210]
	v_add_f64 v[2:3], v[128:129], -v[118:119]
	v_add_f64 v[248:249], v[8:9], v[114:115]
	v_add_f64 v[114:115], v[114:115], -v[60:61]
	v_add_f64 v[201:202], v[40:41], v[34:35]
	s_waitcnt lgkmcnt(0)
	v_add_f64 v[0:1], v[102:103], v[52:53]
	v_add_f64 v[137:138], v[137:138], v[139:140]
	v_add_f64 v[139:140], v[78:79], -v[104:105]
	v_add_f64 v[236:237], v[28:29], v[22:23]
	v_add_f64 v[145:146], v[145:146], v[147:148]
	v_add_f64 v[147:148], v[84:85], -v[100:101]
	v_add_f64 v[215:216], v[102:103], v[66:67]
	v_add_f64 v[238:239], v[26:27], v[32:33]
	;; [unrolled: 1-line block ×4, first 2 shown]
	v_add_f64 v[155:156], v[104:105], -v[78:79]
	v_add_f64 v[157:158], v[157:158], v[159:160]
	v_add_f64 v[159:160], v[100:101], -v[84:85]
	v_fma_f64 v[171:172], v[171:172], -0.5, v[48:49]
	v_add_f64 v[213:214], v[197:198], v[213:214]
	v_add_f64 v[229:230], v[229:230], v[231:232]
	v_add_f64 v[231:232], v[36:37], -v[34:35]
	v_add_f64 v[244:245], v[244:245], v[246:247]
	v_add_f64 v[246:247], v[88:89], -v[102:103]
	v_fma_f64 v[201:202], v[201:202], -0.5, v[4:5]
	v_add_f64 v[0:1], v[88:89], v[0:1]
	v_fma_f64 v[236:237], v[236:237], -0.5, v[254:255]
	scratch_store_b64 off, v[145:146], off offset:32 ; 8-byte Folded Spill
	v_fma_f64 v[215:216], v[215:216], -0.5, v[52:53]
	v_fma_f64 v[238:239], v[238:239], -0.5, v[254:255]
	v_add_f64 v[143:144], v[143:144], v[219:220]
	v_add_f64 v[0:1], v[82:83], v[0:1]
	s_waitcnt vmcnt(3)
	v_mul_f64 v[94:95], v[86:87], v[175:176]
	s_waitcnt vmcnt(2)
	v_mul_f64 v[133:134], v[76:77], v[179:180]
	;; [unrolled: 2-line block ×4, first 2 shown]
	v_mul_f64 v[135:136], v[64:65], v[187:188]
	v_mul_f64 v[167:168], v[24:25], v[175:176]
	;; [unrolled: 1-line block ×4, first 2 shown]
	v_add_f64 v[175:176], v[104:105], v[100:101]
	v_add_f64 v[179:180], v[207:208], -v[131:132]
	v_add_f64 v[183:184], v[118:119], v[38:39]
	v_add_f64 v[187:188], v[30:31], v[36:37]
	v_fma_f64 v[24:25], v[24:25], v[173:174], v[94:95]
	v_fma_f64 v[14:15], v[14:15], v[177:178], v[133:134]
	;; [unrolled: 1-line block ×3, first 2 shown]
	v_fma_f64 v[108:109], v[64:65], v[185:186], -v[126:127]
	v_fma_f64 v[116:117], v[20:21], v[185:186], v[135:136]
	v_add_f64 v[20:21], v[199:200], -v[122:123]
	v_add_f64 v[64:65], v[193:194], -v[203:204]
	v_add_f64 v[94:95], v[122:123], v[203:204]
	v_add_f64 v[96:97], v[122:123], -v[199:200]
	v_add_f64 v[126:127], v[223:224], -v[189:190]
	;; [unrolled: 1-line block ×3, first 2 shown]
	v_add_f64 v[135:136], v[189:190], v[62:63]
	v_fma_f64 v[86:87], v[86:87], v[173:174], -v[167:168]
	v_fma_f64 v[76:77], v[76:77], v[177:178], -v[221:222]
	;; [unrolled: 1-line block ×3, first 2 shown]
	v_add_f64 v[124:125], v[122:123], v[44:45]
	v_add_f64 v[167:168], v[72:73], -v[16:17]
	v_add_f64 v[173:174], v[80:81], v[205:206]
	v_add_f64 v[177:178], v[78:79], v[84:85]
	v_add_f64 v[181:182], v[195:196], -v[197:198]
	v_add_f64 v[185:186], v[128:129], v[106:107]
	v_fma_f64 v[183:184], v[183:184], -0.5, v[6:7]
	v_add_f64 v[169:170], v[169:170], v[179:180]
	v_add_f64 v[179:180], v[34:35], -v[36:37]
	v_add_f64 v[221:222], v[88:89], v[82:83]
	v_add_f64 v[197:198], v[197:198], -v[207:208]
	v_add_f64 v[207:208], v[207:208], v[213:214]
	v_add_f64 v[213:214], v[191:192], v[92:93]
	v_add_f64 v[223:224], v[223:224], -v[219:220]
	ds_load_b64 v[219:220], v68
	v_fma_f64 v[187:188], v[187:188], -0.5, v[4:5]
	v_add_f64 v[4:5], v[4:5], v[30:31]
	v_add_f64 v[189:190], v[189:190], -v[62:63]
	v_add_f64 v[122:123], v[122:123], -v[203:204]
	v_add_f64 v[62:63], v[143:144], v[62:63]
	v_add_f64 v[195:196], v[195:196], -v[131:132]
	v_add_f64 v[242:243], v[24:25], v[18:19]
	v_add_f64 v[240:241], v[14:15], v[116:117]
	;; [unrolled: 1-line block ×3, first 2 shown]
	v_fma_f64 v[94:95], v[94:95], -0.5, v[44:45]
	v_fma_f64 v[44:45], v[120:121], -0.5, v[44:45]
	;; [unrolled: 1-line block ×4, first 2 shown]
	v_add_f64 v[151:152], v[205:206], -v[98:99]
	v_add_f64 v[153:154], v[209:210], -v[80:81]
	v_fma_f64 v[135:136], v[135:136], -0.5, v[10:11]
	v_fma_f64 v[10:11], v[141:142], -0.5, v[10:11]
	;; [unrolled: 1-line block ×3, first 2 shown]
	v_add_f64 v[163:164], v[98:99], -v[205:206]
	v_add_f64 v[64:65], v[106:107], -v[38:39]
	v_add_f64 v[96:97], v[96:97], v[110:111]
	v_add_f64 v[110:111], v[118:119], -v[128:129]
	v_add_f64 v[126:127], v[126:127], v[133:134]
	v_add_f64 v[133:134], v[38:39], -v[106:107]
	v_fma_f64 v[8:9], v[165:166], -0.5, v[8:9]
	v_add_f64 v[165:166], v[209:210], v[48:49]
	v_fma_f64 v[48:49], v[173:174], -0.5, v[48:49]
	v_fma_f64 v[173:174], v[175:176], -0.5, v[46:47]
	;; [unrolled: 1-line block ×3, first 2 shown]
	v_add_f64 v[177:178], v[6:7], v[118:119]
	v_fma_f64 v[185:186], v[185:186], -0.5, v[6:7]
	v_add_f64 v[6:7], v[252:253], v[14:15]
	v_add_f64 v[161:162], v[161:162], v[167:168]
	v_add_f64 v[167:168], v[40:41], -v[30:31]
	v_add_f64 v[181:182], v[181:182], v[211:212]
	v_add_f64 v[211:212], v[30:31], -v[40:41]
	v_add_f64 v[124:125], v[199:200], v[124:125]
	v_add_f64 v[225:226], v[76:77], v[108:109]
	;; [unrolled: 1-line block ×3, first 2 shown]
	v_add_f64 v[199:200], v[199:200], -v[193:194]
	v_fma_f64 v[52:53], v[221:222], -0.5, v[52:53]
	v_add_f64 v[46:47], v[104:105], v[46:47]
	v_fma_f64 v[242:243], v[242:243], -0.5, v[252:253]
	v_add_f64 v[145:146], v[131:132], v[207:208]
	v_fma_f64 v[240:241], v[240:241], -0.5, v[252:253]
	v_add_f64 v[118:119], v[118:119], -v[38:39]
	v_add_f64 v[209:210], v[209:210], -v[98:99]
	;; [unrolled: 1-line block ×4, first 2 shown]
	v_add_f64 v[151:152], v[250:251], v[151:152]
	v_add_f64 v[250:251], v[82:83], -v[66:67]
	v_add_f64 v[153:154], v[153:154], v[163:164]
	v_add_f64 v[163:164], v[102:103], -v[88:89]
	;; [unrolled: 2-line block ×3, first 2 shown]
	v_add_f64 v[64:65], v[26:27], -v[28:29]
	v_add_f64 v[110:111], v[110:111], v[133:134]
	v_add_f64 v[133:134], v[139:140], v[147:148]
	v_add_f64 v[139:140], v[32:33], -v[22:23]
	v_add_f64 v[147:148], v[155:156], v[159:160]
	v_add_f64 v[155:156], v[28:29], -v[26:27]
	v_add_f64 v[165:166], v[80:81], v[165:166]
	v_add_f64 v[177:178], v[128:129], v[177:178]
	v_add_f64 v[128:129], v[128:129], -v[106:107]
	v_add_f64 v[80:81], v[80:81], -v[205:206]
	;; [unrolled: 1-line block ×3, first 2 shown]
	v_add_f64 v[159:160], v[167:168], v[179:180]
	v_add_f64 v[167:168], v[22:23], -v[32:33]
	v_add_f64 v[179:180], v[211:212], v[231:232]
	v_add_f64 v[211:212], v[86:87], -v[76:77]
	v_fma_f64 v[221:222], v[225:226], -0.5, v[50:51]
	v_fma_f64 v[225:226], v[227:228], -0.5, v[50:51]
	v_add_f64 v[50:51], v[76:77], v[50:51]
	v_add_f64 v[227:228], v[254:255], v[28:29]
	;; [unrolled: 1-line block ×3, first 2 shown]
	v_add_f64 v[40:41], v[40:41], -v[34:35]
	v_add_f64 v[46:47], v[78:79], v[46:47]
	v_add_f64 v[78:79], v[78:79], -v[84:85]
	v_add_f64 v[28:29], v[28:29], -v[22:23]
	v_add_f64 v[4:5], v[76:77], -v[108:109]
	v_add_f64 v[231:232], v[246:247], v[250:251]
	v_add_f64 v[246:247], v[54:55], -v[108:109]
	v_add_f64 v[163:164], v[163:164], v[2:3]
	v_add_f64 v[2:3], v[76:77], -v[86:87]
	v_fma_f64 v[76:77], v[189:190], s[4:5], v[44:45]
	v_fma_f64 v[44:45], v[189:190], s[8:9], v[44:45]
	v_add_f64 v[139:140], v[64:65], v[139:140]
	v_add_f64 v[64:65], v[108:109], -v[54:55]
	v_add_f64 v[130:131], v[205:206], v[165:166]
	v_add_f64 v[106:107], v[177:178], v[106:107]
	v_fma_f64 v[205:206], v[195:196], s[8:9], v[8:9]
	v_fma_f64 v[8:9], v[195:196], s[4:5], v[8:9]
	v_add_f64 v[155:156], v[155:156], v[167:168]
	v_add_f64 v[167:168], v[24:25], -v[14:15]
	v_add_f64 v[227:228], v[26:27], v[227:228]
	v_add_f64 v[26:27], v[26:27], -v[32:33]
	v_add_f64 v[34:35], v[254:255], v[34:35]
	v_add_f64 v[46:47], v[84:85], v[46:47]
	v_add_f64 v[211:212], v[211:212], v[246:247]
	v_add_f64 v[246:247], v[18:19], -v[116:117]
	v_fma_f64 v[76:77], v[223:224], s[2:3], v[76:77]
	v_fma_f64 v[44:45], v[223:224], s[0:1], v[44:45]
	v_add_f64 v[250:251], v[2:3], v[64:65]
	v_add_f64 v[2:3], v[14:15], -v[24:25]
	v_add_f64 v[64:65], v[116:117], -v[18:19]
	;; [unrolled: 1-line block ×3, first 2 shown]
	v_fma_f64 v[205:206], v[197:198], s[0:1], v[205:206]
	v_add_f64 v[32:33], v[227:228], v[32:33]
	v_add_f64 v[167:168], v[167:168], v[246:247]
	;; [unrolled: 1-line block ×3, first 2 shown]
	v_add_f64 v[90:91], v[90:91], -v[58:59]
	v_add_f64 v[248:249], v[2:3], v[64:65]
	v_add_f64 v[2:3], v[12:13], v[72:73]
	;; [unrolled: 1-line block ×6, first 2 shown]
	v_fma_f64 v[84:85], v[90:91], s[8:9], v[120:121]
	v_fma_f64 v[120:121], v[90:91], s[4:5], v[120:121]
	v_fma_f64 v[246:247], v[2:3], -0.5, v[112:113]
	v_add_f64 v[2:3], v[112:113], v[12:13]
	v_fma_f64 v[124:125], v[124:125], -0.5, v[112:113]
	s_waitcnt lgkmcnt(0)
	v_fma_f64 v[112:113], v[193:194], -0.5, v[219:220]
	v_fma_f64 v[193:194], v[213:214], -0.5, v[219:220]
	v_add_f64 v[213:214], v[74:75], v[219:220]
	v_add_f64 v[12:13], v[12:13], -v[72:73]
	v_add_f64 v[64:65], v[203:204], v[64:65]
	v_add_f64 v[74:75], v[74:75], -v[70:71]
	v_fma_f64 v[203:204], v[114:115], s[4:5], v[42:43]
	v_fma_f64 v[42:43], v[114:115], s[8:9], v[42:43]
	v_add_f64 v[143:144], v[58:59], v[60:61]
	v_fma_f64 v[58:59], v[199:200], s[4:5], v[135:136]
	v_fma_f64 v[60:61], v[199:200], s[8:9], v[135:136]
	;; [unrolled: 1-line block ×4, first 2 shown]
	v_add_f64 v[219:220], v[217:218], v[2:3]
	v_add_f64 v[217:218], v[217:218], -v[16:17]
	v_add_f64 v[2:3], v[88:89], -v[82:83]
	v_add_f64 v[88:89], v[24:25], v[6:7]
	v_add_f64 v[213:214], v[191:192], v[213:214]
	v_add_f64 v[191:192], v[191:192], -v[92:93]
	v_add_f64 v[6:7], v[86:87], v[50:51]
	v_add_f64 v[50:51], v[86:87], -v[54:55]
	scratch_store_b128 off, v[62:65], off   ; 16-byte Folded Spill
	v_fma_f64 v[62:63], v[223:224], s[8:9], v[94:95]
	v_fma_f64 v[64:65], v[223:224], s[4:5], v[94:95]
	;; [unrolled: 1-line block ×4, first 2 shown]
	v_add_f64 v[24:25], v[24:25], -v[18:19]
	v_fma_f64 v[177:178], v[74:75], s[8:9], v[124:125]
	v_fma_f64 v[124:125], v[74:75], s[4:5], v[124:125]
	;; [unrolled: 1-line block ×11, first 2 shown]
	scratch_store_b128 off, v[143:146], off offset:16 ; 16-byte Folded Spill
	v_fma_f64 v[225:226], v[14:15], s[8:9], v[225:226]
	v_add_f64 v[143:144], v[219:220], v[16:17]
	v_fma_f64 v[94:95], v[217:218], s[4:5], v[112:113]
	v_fma_f64 v[16:17], v[12:13], s[4:5], v[193:194]
	v_add_f64 v[207:208], v[88:89], v[18:19]
	v_add_f64 v[135:136], v[92:93], v[213:214]
	v_fma_f64 v[92:93], v[217:218], s[8:9], v[112:113]
	v_fma_f64 v[112:113], v[12:13], s[8:9], v[193:194]
	;; [unrolled: 1-line block ×4, first 2 shown]
	v_add_f64 v[6:7], v[54:55], v[6:7]
	v_fma_f64 v[54:55], v[128:129], s[8:9], v[171:172]
	v_fma_f64 v[171:172], v[128:129], s[4:5], v[171:172]
	v_fma_f64 v[18:19], v[118:119], s[4:5], v[48:49]
	v_fma_f64 v[48:49], v[118:119], s[8:9], v[48:49]
	v_fma_f64 v[213:214], v[122:123], s[0:1], v[58:59]
	v_fma_f64 v[122:123], v[122:123], s[2:3], v[60:61]
	v_fma_f64 v[58:59], v[40:41], s[8:9], v[173:174]
	v_fma_f64 v[60:61], v[40:41], s[4:5], v[173:174]
	v_fma_f64 v[86:87], v[199:200], s[0:1], v[86:87]
	v_fma_f64 v[173:174], v[199:200], s[2:3], v[10:11]
	v_fma_f64 v[88:89], v[189:190], s[2:3], v[62:63]
	v_fma_f64 v[189:190], v[189:190], s[0:1], v[64:65]
	v_fma_f64 v[64:65], v[80:81], s[8:9], v[183:184]
	v_fma_f64 v[120:121], v[2:3], s[4:5], v[236:237]
	v_fma_f64 v[62:63], v[80:81], s[4:5], v[183:184]
	v_fma_f64 v[183:184], v[209:210], s[8:9], v[185:186]
	v_fma_f64 v[185:186], v[209:210], s[4:5], v[185:186]
	v_fma_f64 v[10:11], v[30:31], s[4:5], v[175:176]
	v_fma_f64 v[177:178], v[191:192], s[0:1], v[177:178]
	v_fma_f64 v[124:125], v[191:192], s[2:3], v[124:125]
	v_fma_f64 v[191:192], v[28:29], s[4:5], v[52:53]
	v_fma_f64 v[82:83], v[195:196], s[0:1], v[82:83]
	v_fma_f64 v[141:142], v[195:196], s[2:3], v[141:142]
	v_fma_f64 v[195:196], v[24:25], s[8:9], v[221:222]
	v_fma_f64 v[221:222], v[24:25], s[4:5], v[221:222]
	v_fma_f64 v[175:176], v[30:31], s[8:9], v[175:176]
	v_fma_f64 v[225:226], v[24:25], s[0:1], v[225:226]
	v_fma_f64 v[246:247], v[24:25], s[2:3], v[8:9]
	v_fma_f64 v[223:224], v[2:3], s[2:3], v[223:224]
	v_fma_f64 v[219:220], v[12:13], s[0:1], v[94:95]
	v_fma_f64 v[94:95], v[104:105], s[4:5], v[201:202]
	v_fma_f64 v[199:200], v[12:13], s[2:3], v[92:93]
	v_fma_f64 v[12:13], v[78:79], s[4:5], v[187:188]
	v_fma_f64 v[92:93], v[78:79], s[8:9], v[187:188]
	v_fma_f64 v[187:188], v[217:218], s[2:3], v[16:17]
	v_fma_f64 v[217:218], v[217:218], s[0:1], v[112:113]
	v_fma_f64 v[165:166], v[74:75], s[0:1], v[165:166]
	v_fma_f64 v[193:194], v[74:75], s[2:3], v[193:194]
	v_fma_f64 v[74:75], v[26:27], s[8:9], v[215:216]
	v_fma_f64 v[112:113], v[26:27], s[4:5], v[215:216]
	v_fma_f64 v[227:228], v[118:119], s[2:3], v[54:55]
	v_fma_f64 v[118:119], v[118:119], s[0:1], v[171:172]
	v_fma_f64 v[171:172], v[50:51], s[4:5], v[240:241]
	v_fma_f64 v[215:216], v[2:3], s[8:9], v[236:237]
	v_fma_f64 v[236:237], v[128:129], s[2:3], v[18:19]
	v_fma_f64 v[18:19], v[4:5], s[4:5], v[242:243]
	s_mov_b32 s4, 0x372fe950
	s_mov_b32 s5, 0x3fd3c6ef
	v_fma_f64 v[48:49], v[128:129], s[0:1], v[48:49]
	v_fma_f64 v[128:129], v[50:51], s[8:9], v[240:241]
	v_add_f64 v[54:55], v[98:99], v[130:131]
	v_fma_f64 v[130:131], v[209:210], s[2:3], v[64:65]
	v_add_f64 v[64:65], v[66:67], v[0:1]
	v_fma_f64 v[66:67], v[102:103], s[0:1], v[120:121]
	v_fma_f64 v[16:17], v[104:105], s[8:9], v[201:202]
	;; [unrolled: 1-line block ×5, first 2 shown]
	v_add_f64 v[52:53], v[106:107], v[38:39]
	v_fma_f64 v[106:107], v[30:31], s[2:3], v[58:59]
	v_fma_f64 v[185:186], v[30:31], s[0:1], v[60:61]
	v_add_f64 v[60:61], v[100:101], v[46:47]
	v_fma_f64 v[98:99], v[209:210], s[0:1], v[62:63]
	v_fma_f64 v[209:210], v[40:41], s[2:3], v[10:11]
	;; [unrolled: 1-line block ×3, first 2 shown]
	v_add_f64 v[62:63], v[32:33], v[22:23]
	v_fma_f64 v[10:11], v[96:97], s[4:5], v[76:77]
	v_fma_f64 v[22:23], v[96:97], s[4:5], v[44:45]
	;; [unrolled: 1-line block ×12, first 2 shown]
	v_add_f64 v[74:75], v[108:109], v[6:7]
	v_fma_f64 v[32:33], v[229:230], s[4:5], v[141:142]
	v_fma_f64 v[6:7], v[4:5], s[0:1], v[171:172]
	;; [unrolled: 1-line block ×13, first 2 shown]
	v_add_nc_u32_e32 v66, 17, v233
	v_fma_f64 v[104:105], v[78:79], s[0:1], v[16:17]
	v_fma_f64 v[78:79], v[153:154], s[4:5], v[48:49]
	v_mul_hi_u32 v48, 0x44d72045, v233
	v_fma_f64 v[76:77], v[110:111], s[4:5], v[80:81]
	v_mul_hi_u32 v49, 0x44d72045, v66
	v_fma_f64 v[82:83], v[133:134], s[4:5], v[106:107]
	v_fma_f64 v[86:87], v[133:134], s[4:5], v[185:186]
	v_add_f64 v[134:135], v[70:71], v[135:136]
	v_add_f64 v[132:133], v[143:144], v[72:73]
	v_fma_f64 v[201:202], v[26:27], s[0:1], v[201:202]
	v_lshrrev_b32_e32 v48, 5, v48
	v_fma_f64 v[136:137], v[157:158], s[4:5], v[165:166]
	v_lshrrev_b32_e32 v67, 5, v49
	v_fma_f64 v[90:91], v[147:148], s[4:5], v[209:210]
	v_fma_f64 v[94:95], v[147:148], s[4:5], v[175:176]
	;; [unrolled: 1-line block ×5, first 2 shown]
	v_add_f64 v[72:73], v[207:208], v[116:117]
	v_fma_f64 v[16:17], v[126:127], s[4:5], v[122:123]
	v_fma_f64 v[126:127], v[250:251], s[4:5], v[225:226]
	;; [unrolled: 1-line block ×8, first 2 shown]
	scratch_load_b64 v[50:51], off, off offset:32 ; 8-byte Folded Reload
	v_fma_f64 v[100:101], v[139:140], s[4:5], v[120:121]
	v_fma_f64 v[140:141], v[157:158], s[4:5], v[193:194]
	;; [unrolled: 1-line block ×3, first 2 shown]
	v_add_f64 v[58:59], v[34:35], v[36:37]
	v_fma_f64 v[116:117], v[167:168], s[4:5], v[4:5]
	v_fma_f64 v[34:35], v[169:170], s[4:5], v[114:115]
	;; [unrolled: 1-line block ×22, first 2 shown]
	s_waitcnt vmcnt(0)
	v_fma_f64 v[138:139], v[50:51], s[4:5], v[199:200]
	v_fma_f64 v[142:143], v[50:51], s[4:5], v[219:220]
	v_mul_lo_u32 v50, 0x77, v48
	v_lshlrev_b64 v[48:49], 4, v[56:57]
	v_mul_lo_u32 v56, 0x77, v67
	s_delay_alu instid0(VALU_DEP_2) | instskip(NEXT) | instid1(VALU_DEP_4)
	v_add_co_u32 v68, vcc_lo, s6, v48
	v_sub_nc_u32_e32 v57, v233, v50
	v_lshlrev_b64 v[50:51], 4, v[234:235]
	v_add_co_ci_u32_e32 v49, vcc_lo, s7, v49, vcc_lo
	v_sub_nc_u32_e32 v48, v66, v56
	s_delay_alu instid0(VALU_DEP_4) | instskip(NEXT) | instid1(VALU_DEP_4)
	v_lshlrev_b32_e32 v70, 4, v57
	v_add_co_u32 v56, vcc_lo, v68, v50
	s_delay_alu instid0(VALU_DEP_4) | instskip(NEXT) | instid1(VALU_DEP_4)
	v_add_co_ci_u32_e32 v57, vcc_lo, v49, v51, vcc_lo
	v_mad_u64_u32 v[49:50], null, 0x253, v67, v[48:49]
	v_add_nc_u32_e32 v48, 34, v233
	s_delay_alu instid0(VALU_DEP_4) | instskip(NEXT) | instid1(VALU_DEP_4)
	v_add_co_u32 v66, vcc_lo, v56, v70
	v_add_co_ci_u32_e32 v67, vcc_lo, 0, v57, vcc_lo
	s_delay_alu instid0(VALU_DEP_3)
	v_mul_hi_u32 v70, 0x44d72045, v48
	v_mov_b32_e32 v50, v69
	v_add_nc_u32_e32 v68, 0x77, v49
	s_clause 0x1
	global_store_b128 v[66:67], v[132:135], off
	global_store_b128 v[66:67], v[128:131], off offset:1904
	v_add_co_u32 v6, vcc_lo, 0x1000, v66
	v_lshlrev_b64 v[4:5], 4, v[49:50]
	v_lshlrev_b64 v[50:51], 4, v[68:69]
	v_lshrrev_b32_e32 v128, 5, v70
	v_add_co_ci_u32_e32 v7, vcc_lo, 0, v67, vcc_lo
	v_add_nc_u32_e32 v68, 0xee, v49
	v_add_co_u32 v4, vcc_lo, v56, v4
	s_delay_alu instid0(VALU_DEP_4)
	v_mul_lo_u32 v129, 0x77, v128
	v_add_co_ci_u32_e32 v5, vcc_lo, v57, v5, vcc_lo
	v_add_co_u32 v50, vcc_lo, v56, v50
	v_add_co_ci_u32_e32 v51, vcc_lo, v57, v51, vcc_lo
	s_clause 0x4
	global_store_b128 v[66:67], v[140:143], off offset:3808
	global_store_b128 v[6:7], v[136:139], off offset:1616
	;; [unrolled: 1-line block ×3, first 2 shown]
	global_store_b128 v[4:5], v[72:75], off
	global_store_b128 v[50:51], v[124:127], off
	v_sub_nc_u32_e32 v6, v48, v129
	v_add_nc_u32_e32 v74, 51, v233
	v_lshlrev_b64 v[70:71], 4, v[68:69]
	v_add_nc_u32_e32 v68, 0x165, v49
	s_delay_alu instid0(VALU_DEP_4) | instskip(SKIP_1) | instid1(VALU_DEP_3)
	v_mad_u64_u32 v[50:51], null, 0x253, v128, v[6:7]
	v_mov_b32_e32 v51, v69
	v_lshlrev_b64 v[4:5], 4, v[68:69]
	v_add_nc_u32_e32 v68, 0x1dc, v49
	v_add_co_u32 v48, vcc_lo, v56, v70
	v_add_co_ci_u32_e32 v49, vcc_lo, v57, v71, vcc_lo
	v_lshlrev_b64 v[66:67], 4, v[50:51]
	v_mul_hi_u32 v51, 0x44d72045, v74
	v_lshlrev_b64 v[6:7], 4, v[68:69]
	v_add_nc_u32_e32 v68, 0x77, v50
	v_add_co_u32 v4, vcc_lo, v56, v4
	v_add_co_ci_u32_e32 v5, vcc_lo, v57, v5, vcc_lo
	s_delay_alu instid0(VALU_DEP_4) | instskip(SKIP_4) | instid1(VALU_DEP_4)
	v_add_co_u32 v6, vcc_lo, v56, v6
	v_lshrrev_b32_e32 v75, 5, v51
	v_lshlrev_b64 v[70:71], 4, v[68:69]
	v_add_co_ci_u32_e32 v7, vcc_lo, v57, v7, vcc_lo
	v_add_co_u32 v66, vcc_lo, v56, v66
	v_mul_lo_u32 v51, 0x77, v75
	v_add_nc_u32_e32 v68, 0xee, v50
	v_add_co_ci_u32_e32 v67, vcc_lo, v57, v67, vcc_lo
	v_add_co_u32 v70, vcc_lo, v56, v70
	v_add_co_ci_u32_e32 v71, vcc_lo, v57, v71, vcc_lo
	s_delay_alu instid0(VALU_DEP_4)
	v_lshlrev_b64 v[72:73], 4, v[68:69]
	v_add_nc_u32_e32 v68, 0x165, v50
	s_clause 0x4
	global_store_b128 v[48:49], v[116:119], off
	global_store_b128 v[4:5], v[112:115], off
	;; [unrolled: 1-line block ×5, first 2 shown]
	v_sub_nc_u32_e32 v6, v74, v51
	v_add_nc_u32_e32 v70, 0x44, v233
	v_lshlrev_b64 v[4:5], 4, v[68:69]
	v_add_nc_u32_e32 v68, 0x1dc, v50
	s_delay_alu instid0(VALU_DEP_4) | instskip(SKIP_2) | instid1(VALU_DEP_4)
	v_mad_u64_u32 v[50:51], null, 0x253, v75, v[6:7]
	v_mov_b32_e32 v51, v69
	v_add_co_u32 v48, vcc_lo, v56, v72
	v_lshlrev_b64 v[6:7], 4, v[68:69]
	v_add_co_ci_u32_e32 v49, vcc_lo, v57, v73, vcc_lo
	s_delay_alu instid0(VALU_DEP_4)
	v_lshlrev_b64 v[62:63], 4, v[50:51]
	v_mul_hi_u32 v51, 0x44d72045, v70
	v_add_nc_u32_e32 v68, 0x77, v50
	v_add_co_u32 v4, vcc_lo, v56, v4
	v_add_co_ci_u32_e32 v5, vcc_lo, v57, v5, vcc_lo
	v_add_co_u32 v6, vcc_lo, v56, v6
	v_lshrrev_b32_e32 v71, 5, v51
	v_lshlrev_b64 v[64:65], 4, v[68:69]
	v_add_co_ci_u32_e32 v7, vcc_lo, v57, v7, vcc_lo
	v_add_co_u32 v62, vcc_lo, v56, v62
	s_delay_alu instid0(VALU_DEP_4) | instskip(SKIP_4) | instid1(VALU_DEP_4)
	v_mul_lo_u32 v51, 0x77, v71
	v_add_nc_u32_e32 v68, 0xee, v50
	v_add_co_ci_u32_e32 v63, vcc_lo, v57, v63, vcc_lo
	v_add_co_u32 v64, vcc_lo, v56, v64
	v_add_co_ci_u32_e32 v65, vcc_lo, v57, v65, vcc_lo
	v_lshlrev_b64 v[66:67], 4, v[68:69]
	v_add_nc_u32_e32 v68, 0x165, v50
	s_clause 0x4
	global_store_b128 v[48:49], v[100:103], off
	global_store_b128 v[4:5], v[96:99], off
	;; [unrolled: 1-line block ×5, first 2 shown]
	v_sub_nc_u32_e32 v6, v70, v51
	v_add_nc_u32_e32 v64, 0x55, v233
	v_lshlrev_b64 v[4:5], 4, v[68:69]
	v_add_nc_u32_e32 v68, 0x1dc, v50
	s_delay_alu instid0(VALU_DEP_4) | instskip(SKIP_2) | instid1(VALU_DEP_4)
	v_mad_u64_u32 v[50:51], null, 0x253, v71, v[6:7]
	v_mov_b32_e32 v51, v69
	v_add_co_u32 v48, vcc_lo, v56, v66
	v_lshlrev_b64 v[6:7], 4, v[68:69]
	v_add_co_ci_u32_e32 v49, vcc_lo, v57, v67, vcc_lo
	s_delay_alu instid0(VALU_DEP_4) | instskip(SKIP_4) | instid1(VALU_DEP_3)
	v_lshlrev_b64 v[58:59], 4, v[50:51]
	v_mul_hi_u32 v51, 0x44d72045, v64
	v_add_nc_u32_e32 v68, 0x77, v50
	v_add_co_u32 v4, vcc_lo, v56, v4
	v_add_co_ci_u32_e32 v5, vcc_lo, v57, v5, vcc_lo
	v_lshlrev_b64 v[60:61], 4, v[68:69]
	v_add_nc_u32_e32 v68, 0xee, v50
	v_lshrrev_b32_e32 v65, 5, v51
	v_add_co_u32 v6, vcc_lo, v56, v6
	v_add_co_ci_u32_e32 v7, vcc_lo, v57, v7, vcc_lo
	s_delay_alu instid0(VALU_DEP_3)
	v_mul_lo_u32 v51, 0x77, v65
	v_add_co_u32 v58, vcc_lo, v56, v58
	v_lshlrev_b64 v[62:63], 4, v[68:69]
	v_add_nc_u32_e32 v68, 0x165, v50
	v_add_co_ci_u32_e32 v59, vcc_lo, v57, v59, vcc_lo
	v_add_co_u32 v60, vcc_lo, v56, v60
	v_add_co_ci_u32_e32 v61, vcc_lo, v57, v61, vcc_lo
	s_clause 0x4
	global_store_b128 v[48:49], v[84:87], off
	global_store_b128 v[4:5], v[80:83], off
	;; [unrolled: 1-line block ×5, first 2 shown]
	v_add_nc_u32_e32 v55, 0x66, v233
	v_lshlrev_b64 v[4:5], 4, v[68:69]
	v_add_nc_u32_e32 v68, 0x1dc, v50
	v_sub_nc_u32_e32 v6, v64, v51
	v_add_co_u32 v48, vcc_lo, v56, v62
	v_add_co_ci_u32_e32 v49, vcc_lo, v57, v63, vcc_lo
	s_delay_alu instid0(VALU_DEP_3) | instskip(SKIP_4) | instid1(VALU_DEP_4)
	v_mad_u64_u32 v[50:51], null, 0x253, v65, v[6:7]
	v_lshlrev_b64 v[6:7], 4, v[68:69]
	v_add_co_u32 v4, vcc_lo, v56, v4
	v_add_co_ci_u32_e32 v5, vcc_lo, v57, v5, vcc_lo
	v_mov_b32_e32 v51, v69
	v_add_co_u32 v6, vcc_lo, v56, v6
	v_add_co_ci_u32_e32 v7, vcc_lo, v57, v7, vcc_lo
	s_clause 0x2
	global_store_b128 v[48:49], v[0:3], off
	global_store_b128 v[4:5], v[40:43], off
	;; [unrolled: 1-line block ×3, first 2 shown]
	scratch_load_b128 v[0:3], off, off offset:16 ; 16-byte Folded Reload
	v_add_nc_u32_e32 v68, 0x77, v50
	v_lshlrev_b64 v[51:52], 4, v[50:51]
	v_mul_hi_u32 v58, 0x44d72045, v55
	s_delay_alu instid0(VALU_DEP_3) | instskip(SKIP_1) | instid1(VALU_DEP_4)
	v_lshlrev_b64 v[53:54], 4, v[68:69]
	v_add_nc_u32_e32 v68, 0xee, v50
	v_add_co_u32 v51, vcc_lo, v56, v51
	v_add_co_ci_u32_e32 v52, vcc_lo, v57, v52, vcc_lo
	s_delay_alu instid0(VALU_DEP_4) | instskip(SKIP_4) | instid1(VALU_DEP_4)
	v_add_co_u32 v53, vcc_lo, v56, v53
	v_lshrrev_b32_e32 v60, 5, v58
	v_lshlrev_b64 v[58:59], 4, v[68:69]
	v_add_nc_u32_e32 v68, 0x165, v50
	v_add_co_ci_u32_e32 v54, vcc_lo, v57, v54, vcc_lo
	v_mul_lo_u32 v61, 0x77, v60
	s_waitcnt vmcnt(0)
	s_clause 0x1
	global_store_b128 v[51:52], v[0:3], off
	global_store_b128 v[53:54], v[36:39], off
	v_lshlrev_b64 v[0:1], 4, v[68:69]
	v_add_nc_u32_e32 v68, 0x1dc, v50
	v_add_co_u32 v3, vcc_lo, v56, v58
	v_add_co_ci_u32_e32 v4, vcc_lo, v57, v59, vcc_lo
	s_delay_alu instid0(VALU_DEP_3) | instskip(SKIP_3) | instid1(VALU_DEP_4)
	v_lshlrev_b64 v[5:6], 4, v[68:69]
	v_add_co_u32 v0, vcc_lo, v56, v0
	v_add_co_ci_u32_e32 v1, vcc_lo, v57, v1, vcc_lo
	v_sub_nc_u32_e32 v2, v55, v61
	v_add_co_u32 v5, vcc_lo, v56, v5
	v_add_co_ci_u32_e32 v6, vcc_lo, v57, v6, vcc_lo
	s_clause 0x2
	global_store_b128 v[3:4], v[32:35], off
	global_store_b128 v[0:1], v[24:27], off
	;; [unrolled: 1-line block ×3, first 2 shown]
	scratch_load_b128 v[26:29], off, off    ; 16-byte Folded Reload
	v_mad_u64_u32 v[36:37], null, 0x253, v60, v[2:3]
	s_delay_alu instid0(VALU_DEP_1) | instskip(NEXT) | instid1(VALU_DEP_1)
	v_dual_mov_b32 v37, v69 :: v_dual_add_nc_u32 v68, 0x77, v36
	v_lshlrev_b64 v[37:38], 4, v[36:37]
	s_delay_alu instid0(VALU_DEP_2) | instskip(SKIP_1) | instid1(VALU_DEP_3)
	v_lshlrev_b64 v[0:1], 4, v[68:69]
	v_add_nc_u32_e32 v68, 0xee, v36
	v_add_co_u32 v2, vcc_lo, v56, v37
	s_delay_alu instid0(VALU_DEP_4) | instskip(NEXT) | instid1(VALU_DEP_3)
	v_add_co_ci_u32_e32 v3, vcc_lo, v57, v38, vcc_lo
	v_lshlrev_b64 v[4:5], 4, v[68:69]
	v_add_nc_u32_e32 v68, 0x165, v36
	v_add_co_u32 v0, vcc_lo, v56, v0
	v_add_co_ci_u32_e32 v1, vcc_lo, v57, v1, vcc_lo
	s_delay_alu instid0(VALU_DEP_3) | instskip(SKIP_3) | instid1(VALU_DEP_3)
	v_lshlrev_b64 v[6:7], 4, v[68:69]
	v_add_nc_u32_e32 v68, 0x1dc, v36
	v_add_co_u32 v4, vcc_lo, v56, v4
	v_add_co_ci_u32_e32 v5, vcc_lo, v57, v5, vcc_lo
	v_lshlrev_b64 v[24:25], 4, v[68:69]
	v_add_co_u32 v6, vcc_lo, v56, v6
	v_add_co_ci_u32_e32 v7, vcc_lo, v57, v7, vcc_lo
	s_delay_alu instid0(VALU_DEP_3) | instskip(NEXT) | instid1(VALU_DEP_4)
	v_add_co_u32 v24, vcc_lo, v56, v24
	v_add_co_ci_u32_e32 v25, vcc_lo, v57, v25, vcc_lo
	s_waitcnt vmcnt(0)
	s_clause 0x4
	global_store_b128 v[2:3], v[26:29], off
	global_store_b128 v[0:1], v[20:23], off
	;; [unrolled: 1-line block ×5, first 2 shown]
.LBB0_22:
	s_endpgm
	.section	.rodata,"a",@progbits
	.p2align	6, 0x0
	.amdhsa_kernel fft_rtc_back_len595_factors_7_17_5_wgs_51_tpt_17_halfLds_dp_op_CI_CI_unitstride_sbrr_dirReg
		.amdhsa_group_segment_fixed_size 0
		.amdhsa_private_segment_fixed_size 640
		.amdhsa_kernarg_size 104
		.amdhsa_user_sgpr_count 15
		.amdhsa_user_sgpr_dispatch_ptr 0
		.amdhsa_user_sgpr_queue_ptr 0
		.amdhsa_user_sgpr_kernarg_segment_ptr 1
		.amdhsa_user_sgpr_dispatch_id 0
		.amdhsa_user_sgpr_private_segment_size 0
		.amdhsa_wavefront_size32 1
		.amdhsa_uses_dynamic_stack 0
		.amdhsa_enable_private_segment 1
		.amdhsa_system_sgpr_workgroup_id_x 1
		.amdhsa_system_sgpr_workgroup_id_y 0
		.amdhsa_system_sgpr_workgroup_id_z 0
		.amdhsa_system_sgpr_workgroup_info 0
		.amdhsa_system_vgpr_workitem_id 0
		.amdhsa_next_free_vgpr 256
		.amdhsa_next_free_sgpr 58
		.amdhsa_reserve_vcc 1
		.amdhsa_float_round_mode_32 0
		.amdhsa_float_round_mode_16_64 0
		.amdhsa_float_denorm_mode_32 3
		.amdhsa_float_denorm_mode_16_64 3
		.amdhsa_dx10_clamp 1
		.amdhsa_ieee_mode 1
		.amdhsa_fp16_overflow 0
		.amdhsa_workgroup_processor_mode 1
		.amdhsa_memory_ordered 1
		.amdhsa_forward_progress 0
		.amdhsa_shared_vgpr_count 0
		.amdhsa_exception_fp_ieee_invalid_op 0
		.amdhsa_exception_fp_denorm_src 0
		.amdhsa_exception_fp_ieee_div_zero 0
		.amdhsa_exception_fp_ieee_overflow 0
		.amdhsa_exception_fp_ieee_underflow 0
		.amdhsa_exception_fp_ieee_inexact 0
		.amdhsa_exception_int_div_zero 0
	.end_amdhsa_kernel
	.text
.Lfunc_end0:
	.size	fft_rtc_back_len595_factors_7_17_5_wgs_51_tpt_17_halfLds_dp_op_CI_CI_unitstride_sbrr_dirReg, .Lfunc_end0-fft_rtc_back_len595_factors_7_17_5_wgs_51_tpt_17_halfLds_dp_op_CI_CI_unitstride_sbrr_dirReg
                                        ; -- End function
	.section	.AMDGPU.csdata,"",@progbits
; Kernel info:
; codeLenInByte = 37660
; NumSgprs: 60
; NumVgprs: 256
; ScratchSize: 640
; MemoryBound: 1
; FloatMode: 240
; IeeeMode: 1
; LDSByteSize: 0 bytes/workgroup (compile time only)
; SGPRBlocks: 7
; VGPRBlocks: 31
; NumSGPRsForWavesPerEU: 60
; NumVGPRsForWavesPerEU: 256
; Occupancy: 5
; WaveLimiterHint : 1
; COMPUTE_PGM_RSRC2:SCRATCH_EN: 1
; COMPUTE_PGM_RSRC2:USER_SGPR: 15
; COMPUTE_PGM_RSRC2:TRAP_HANDLER: 0
; COMPUTE_PGM_RSRC2:TGID_X_EN: 1
; COMPUTE_PGM_RSRC2:TGID_Y_EN: 0
; COMPUTE_PGM_RSRC2:TGID_Z_EN: 0
; COMPUTE_PGM_RSRC2:TIDIG_COMP_CNT: 0
	.text
	.p2alignl 7, 3214868480
	.fill 96, 4, 3214868480
	.type	__hip_cuid_b96c377313128d7c,@object ; @__hip_cuid_b96c377313128d7c
	.section	.bss,"aw",@nobits
	.globl	__hip_cuid_b96c377313128d7c
__hip_cuid_b96c377313128d7c:
	.byte	0                               ; 0x0
	.size	__hip_cuid_b96c377313128d7c, 1

	.ident	"AMD clang version 19.0.0git (https://github.com/RadeonOpenCompute/llvm-project roc-6.4.0 25133 c7fe45cf4b819c5991fe208aaa96edf142730f1d)"
	.section	".note.GNU-stack","",@progbits
	.addrsig
	.addrsig_sym __hip_cuid_b96c377313128d7c
	.amdgpu_metadata
---
amdhsa.kernels:
  - .args:
      - .actual_access:  read_only
        .address_space:  global
        .offset:         0
        .size:           8
        .value_kind:     global_buffer
      - .offset:         8
        .size:           8
        .value_kind:     by_value
      - .actual_access:  read_only
        .address_space:  global
        .offset:         16
        .size:           8
        .value_kind:     global_buffer
      - .actual_access:  read_only
        .address_space:  global
        .offset:         24
        .size:           8
        .value_kind:     global_buffer
      - .actual_access:  read_only
        .address_space:  global
        .offset:         32
        .size:           8
        .value_kind:     global_buffer
      - .offset:         40
        .size:           8
        .value_kind:     by_value
      - .actual_access:  read_only
        .address_space:  global
        .offset:         48
        .size:           8
        .value_kind:     global_buffer
      - .actual_access:  read_only
        .address_space:  global
        .offset:         56
        .size:           8
        .value_kind:     global_buffer
      - .offset:         64
        .size:           4
        .value_kind:     by_value
      - .actual_access:  read_only
        .address_space:  global
        .offset:         72
        .size:           8
        .value_kind:     global_buffer
      - .actual_access:  read_only
        .address_space:  global
        .offset:         80
        .size:           8
        .value_kind:     global_buffer
      - .actual_access:  read_only
        .address_space:  global
        .offset:         88
        .size:           8
        .value_kind:     global_buffer
      - .actual_access:  write_only
        .address_space:  global
        .offset:         96
        .size:           8
        .value_kind:     global_buffer
    .group_segment_fixed_size: 0
    .kernarg_segment_align: 8
    .kernarg_segment_size: 104
    .language:       OpenCL C
    .language_version:
      - 2
      - 0
    .max_flat_workgroup_size: 51
    .name:           fft_rtc_back_len595_factors_7_17_5_wgs_51_tpt_17_halfLds_dp_op_CI_CI_unitstride_sbrr_dirReg
    .private_segment_fixed_size: 640
    .sgpr_count:     60
    .sgpr_spill_count: 0
    .symbol:         fft_rtc_back_len595_factors_7_17_5_wgs_51_tpt_17_halfLds_dp_op_CI_CI_unitstride_sbrr_dirReg.kd
    .uniform_work_group_size: 1
    .uses_dynamic_stack: false
    .vgpr_count:     256
    .vgpr_spill_count: 179
    .wavefront_size: 32
    .workgroup_processor_mode: 1
amdhsa.target:   amdgcn-amd-amdhsa--gfx1100
amdhsa.version:
  - 1
  - 2
...

	.end_amdgpu_metadata
